;; amdgpu-corpus repo=ROCm/rocFFT kind=compiled arch=gfx950 opt=O3
	.text
	.amdgcn_target "amdgcn-amd-amdhsa--gfx950"
	.amdhsa_code_object_version 6
	.protected	fft_rtc_back_len2002_factors_2_13_7_11_wgs_182_tpt_182_halfLds_sp_ip_CI_unitstride_sbrr_dirReg ; -- Begin function fft_rtc_back_len2002_factors_2_13_7_11_wgs_182_tpt_182_halfLds_sp_ip_CI_unitstride_sbrr_dirReg
	.globl	fft_rtc_back_len2002_factors_2_13_7_11_wgs_182_tpt_182_halfLds_sp_ip_CI_unitstride_sbrr_dirReg
	.p2align	8
	.type	fft_rtc_back_len2002_factors_2_13_7_11_wgs_182_tpt_182_halfLds_sp_ip_CI_unitstride_sbrr_dirReg,@function
fft_rtc_back_len2002_factors_2_13_7_11_wgs_182_tpt_182_halfLds_sp_ip_CI_unitstride_sbrr_dirReg: ; @fft_rtc_back_len2002_factors_2_13_7_11_wgs_182_tpt_182_halfLds_sp_ip_CI_unitstride_sbrr_dirReg
; %bb.0:
	s_load_dwordx2 s[4:5], s[0:1], 0x50
	s_load_dwordx4 s[8:11], s[0:1], 0x0
	s_load_dwordx2 s[6:7], s[0:1], 0x18
	v_mul_u32_u24_e32 v1, 0x169, v0
	v_add_u32_sdwa v6, s2, v1 dst_sel:DWORD dst_unused:UNUSED_PAD src0_sel:DWORD src1_sel:WORD_1
	v_mov_b32_e32 v4, 0
	s_waitcnt lgkmcnt(0)
	v_cmp_lt_u64_e64 s[2:3], s[10:11], 2
	v_mov_b32_e32 v7, v4
	s_and_b64 vcc, exec, s[2:3]
	v_mov_b64_e32 v[2:3], 0
	s_cbranch_vccnz .LBB0_8
; %bb.1:
	s_load_dwordx2 s[2:3], s[0:1], 0x10
	s_add_u32 s12, s6, 8
	s_addc_u32 s13, s7, 0
	s_mov_b64 s[14:15], 1
	v_mov_b64_e32 v[2:3], 0
	s_waitcnt lgkmcnt(0)
	s_add_u32 s16, s2, 8
	s_addc_u32 s17, s3, 0
.LBB0_2:                                ; =>This Inner Loop Header: Depth=1
	s_load_dwordx2 s[18:19], s[16:17], 0x0
                                        ; implicit-def: $vgpr8_vgpr9
	s_waitcnt lgkmcnt(0)
	v_or_b32_e32 v5, s19, v7
	v_cmp_ne_u64_e32 vcc, 0, v[4:5]
	s_and_saveexec_b64 s[2:3], vcc
	s_xor_b64 s[20:21], exec, s[2:3]
	s_cbranch_execz .LBB0_4
; %bb.3:                                ;   in Loop: Header=BB0_2 Depth=1
	v_cvt_f32_u32_e32 v1, s18
	v_cvt_f32_u32_e32 v5, s19
	s_sub_u32 s2, 0, s18
	s_subb_u32 s3, 0, s19
	v_fmac_f32_e32 v1, 0x4f800000, v5
	v_rcp_f32_e32 v1, v1
	s_nop 0
	v_mul_f32_e32 v1, 0x5f7ffffc, v1
	v_mul_f32_e32 v5, 0x2f800000, v1
	v_trunc_f32_e32 v5, v5
	v_fmac_f32_e32 v1, 0xcf800000, v5
	v_cvt_u32_f32_e32 v5, v5
	v_cvt_u32_f32_e32 v1, v1
	v_mul_lo_u32 v8, s2, v5
	v_mul_hi_u32 v10, s2, v1
	v_mul_lo_u32 v9, s3, v1
	v_add_u32_e32 v10, v10, v8
	v_mul_lo_u32 v12, s2, v1
	v_add_u32_e32 v13, v10, v9
	v_mul_hi_u32 v8, v1, v12
	v_mul_hi_u32 v11, v1, v13
	v_mul_lo_u32 v10, v1, v13
	v_mov_b32_e32 v9, v4
	v_lshl_add_u64 v[8:9], v[8:9], 0, v[10:11]
	v_mul_hi_u32 v11, v5, v12
	v_mul_lo_u32 v12, v5, v12
	v_add_co_u32_e32 v8, vcc, v8, v12
	v_mul_hi_u32 v10, v5, v13
	s_nop 0
	v_addc_co_u32_e32 v8, vcc, v9, v11, vcc
	v_mov_b32_e32 v9, v4
	s_nop 0
	v_addc_co_u32_e32 v11, vcc, 0, v10, vcc
	v_mul_lo_u32 v10, v5, v13
	v_lshl_add_u64 v[8:9], v[8:9], 0, v[10:11]
	v_add_co_u32_e32 v1, vcc, v1, v8
	v_mul_lo_u32 v10, s2, v1
	s_nop 0
	v_addc_co_u32_e32 v5, vcc, v5, v9, vcc
	v_mul_lo_u32 v8, s2, v5
	v_mul_hi_u32 v9, s2, v1
	v_add_u32_e32 v8, v9, v8
	v_mul_lo_u32 v9, s3, v1
	v_add_u32_e32 v12, v8, v9
	v_mul_hi_u32 v14, v5, v10
	v_mul_lo_u32 v15, v5, v10
	v_mul_hi_u32 v9, v1, v12
	v_mul_lo_u32 v8, v1, v12
	v_mul_hi_u32 v10, v1, v10
	v_mov_b32_e32 v11, v4
	v_lshl_add_u64 v[8:9], v[10:11], 0, v[8:9]
	v_add_co_u32_e32 v8, vcc, v8, v15
	v_mul_hi_u32 v13, v5, v12
	s_nop 0
	v_addc_co_u32_e32 v8, vcc, v9, v14, vcc
	v_mul_lo_u32 v10, v5, v12
	s_nop 0
	v_addc_co_u32_e32 v11, vcc, 0, v13, vcc
	v_mov_b32_e32 v9, v4
	v_lshl_add_u64 v[8:9], v[8:9], 0, v[10:11]
	v_add_co_u32_e32 v1, vcc, v1, v8
	v_mul_hi_u32 v10, v6, v1
	s_nop 0
	v_addc_co_u32_e32 v5, vcc, v5, v9, vcc
	v_mad_u64_u32 v[8:9], s[2:3], v6, v5, 0
	v_mov_b32_e32 v11, v4
	v_lshl_add_u64 v[8:9], v[10:11], 0, v[8:9]
	v_mad_u64_u32 v[12:13], s[2:3], v7, v1, 0
	v_add_co_u32_e32 v1, vcc, v8, v12
	v_mad_u64_u32 v[10:11], s[2:3], v7, v5, 0
	s_nop 0
	v_addc_co_u32_e32 v8, vcc, v9, v13, vcc
	v_mov_b32_e32 v9, v4
	s_nop 0
	v_addc_co_u32_e32 v11, vcc, 0, v11, vcc
	v_lshl_add_u64 v[8:9], v[8:9], 0, v[10:11]
	v_mul_lo_u32 v1, s19, v8
	v_mul_lo_u32 v5, s18, v9
	v_mad_u64_u32 v[10:11], s[2:3], s18, v8, 0
	v_add3_u32 v1, v11, v5, v1
	v_sub_u32_e32 v5, v7, v1
	v_mov_b32_e32 v11, s19
	v_sub_co_u32_e32 v14, vcc, v6, v10
	v_lshl_add_u64 v[12:13], v[8:9], 0, 1
	s_nop 0
	v_subb_co_u32_e64 v5, s[2:3], v5, v11, vcc
	v_subrev_co_u32_e64 v10, s[2:3], s18, v14
	v_subb_co_u32_e32 v1, vcc, v7, v1, vcc
	s_nop 0
	v_subbrev_co_u32_e64 v5, s[2:3], 0, v5, s[2:3]
	v_cmp_le_u32_e64 s[2:3], s19, v5
	v_cmp_le_u32_e32 vcc, s19, v1
	s_nop 0
	v_cndmask_b32_e64 v11, 0, -1, s[2:3]
	v_cmp_le_u32_e64 s[2:3], s18, v10
	s_nop 1
	v_cndmask_b32_e64 v10, 0, -1, s[2:3]
	v_cmp_eq_u32_e64 s[2:3], s19, v5
	s_nop 1
	v_cndmask_b32_e64 v5, v11, v10, s[2:3]
	v_lshl_add_u64 v[10:11], v[8:9], 0, 2
	v_cmp_ne_u32_e64 s[2:3], 0, v5
	s_nop 1
	v_cndmask_b32_e64 v5, v13, v11, s[2:3]
	v_cndmask_b32_e64 v11, 0, -1, vcc
	v_cmp_le_u32_e32 vcc, s18, v14
	s_nop 1
	v_cndmask_b32_e64 v13, 0, -1, vcc
	v_cmp_eq_u32_e32 vcc, s19, v1
	s_nop 1
	v_cndmask_b32_e32 v1, v11, v13, vcc
	v_cmp_ne_u32_e32 vcc, 0, v1
	v_cndmask_b32_e64 v1, v12, v10, s[2:3]
	s_nop 0
	v_cndmask_b32_e32 v9, v9, v5, vcc
	v_cndmask_b32_e32 v8, v8, v1, vcc
.LBB0_4:                                ;   in Loop: Header=BB0_2 Depth=1
	s_andn2_saveexec_b64 s[2:3], s[20:21]
	s_cbranch_execz .LBB0_6
; %bb.5:                                ;   in Loop: Header=BB0_2 Depth=1
	v_cvt_f32_u32_e32 v1, s18
	s_sub_i32 s20, 0, s18
	v_rcp_iflag_f32_e32 v1, v1
	s_nop 0
	v_mul_f32_e32 v1, 0x4f7ffffe, v1
	v_cvt_u32_f32_e32 v1, v1
	v_mul_lo_u32 v5, s20, v1
	v_mul_hi_u32 v5, v1, v5
	v_add_u32_e32 v1, v1, v5
	v_mul_hi_u32 v1, v6, v1
	v_mul_lo_u32 v5, v1, s18
	v_sub_u32_e32 v5, v6, v5
	v_add_u32_e32 v8, 1, v1
	v_subrev_u32_e32 v9, s18, v5
	v_cmp_le_u32_e32 vcc, s18, v5
	s_nop 1
	v_cndmask_b32_e32 v5, v5, v9, vcc
	v_cndmask_b32_e32 v1, v1, v8, vcc
	v_add_u32_e32 v8, 1, v1
	v_cmp_le_u32_e32 vcc, s18, v5
	v_mov_b32_e32 v9, v4
	s_nop 0
	v_cndmask_b32_e32 v8, v1, v8, vcc
.LBB0_6:                                ;   in Loop: Header=BB0_2 Depth=1
	s_or_b64 exec, exec, s[2:3]
	v_mad_u64_u32 v[10:11], s[2:3], v8, s18, 0
	s_load_dwordx2 s[2:3], s[12:13], 0x0
	v_mul_lo_u32 v1, v9, s18
	v_mul_lo_u32 v5, v8, s19
	v_add3_u32 v1, v11, v5, v1
	v_sub_co_u32_e32 v5, vcc, v6, v10
	s_add_u32 s14, s14, 1
	s_nop 0
	v_subb_co_u32_e32 v1, vcc, v7, v1, vcc
	s_addc_u32 s15, s15, 0
	s_waitcnt lgkmcnt(0)
	v_mul_lo_u32 v1, s2, v1
	v_mul_lo_u32 v6, s3, v5
	v_mad_u64_u32 v[2:3], s[2:3], s2, v5, v[2:3]
	s_add_u32 s12, s12, 8
	v_add3_u32 v3, v6, v3, v1
	s_addc_u32 s13, s13, 0
	v_mov_b64_e32 v[6:7], s[10:11]
	s_add_u32 s16, s16, 8
	v_cmp_ge_u64_e32 vcc, s[14:15], v[6:7]
	s_addc_u32 s17, s17, 0
	s_cbranch_vccnz .LBB0_9
; %bb.7:                                ;   in Loop: Header=BB0_2 Depth=1
	v_mov_b64_e32 v[6:7], v[8:9]
	s_branch .LBB0_2
.LBB0_8:
	v_mov_b64_e32 v[8:9], v[6:7]
.LBB0_9:
	s_lshl_b64 s[2:3], s[10:11], 3
	s_add_u32 s2, s6, s2
	s_addc_u32 s3, s7, s3
	s_load_dwordx2 s[6:7], s[2:3], 0x0
	s_load_dwordx2 s[10:11], s[0:1], 0x20
	s_mov_b32 s2, 0x1681682
                                        ; implicit-def: $vgpr16
                                        ; implicit-def: $vgpr22
                                        ; implicit-def: $vgpr12
                                        ; implicit-def: $vgpr14
                                        ; implicit-def: $vgpr26
                                        ; implicit-def: $vgpr24
                                        ; implicit-def: $vgpr40
                                        ; implicit-def: $vgpr33
                                        ; implicit-def: $vgpr20
                                        ; implicit-def: $vgpr35
                                        ; implicit-def: $vgpr42
                                        ; implicit-def: $vgpr31
                                        ; implicit-def: $vgpr18
                                        ; implicit-def: $vgpr37
                                        ; implicit-def: $vgpr44
                                        ; implicit-def: $vgpr29
                                        ; implicit-def: $vgpr46
                                        ; implicit-def: $vgpr39
	s_waitcnt lgkmcnt(0)
	v_mul_lo_u32 v1, s6, v9
	v_mul_lo_u32 v4, s7, v8
	v_mad_u64_u32 v[6:7], s[0:1], s6, v8, v[2:3]
	v_add3_u32 v7, v4, v7, v1
	v_mul_hi_u32 v1, v0, s2
	v_cmp_gt_u64_e64 s[0:1], s[10:11], v[8:9]
	v_mul_u32_u24_e32 v1, 0xb6, v1
	v_mov_b32_e32 v8, 0
	v_sub_u32_e32 v4, v0, v1
	v_mov_b32_e32 v2, 0
	v_lshl_add_u64 v[0:1], v[6:7], 3, s[4:5]
	v_mov_b32_e32 v9, v8
                                        ; implicit-def: $vgpr6
	s_and_saveexec_b64 s[2:3], s[0:1]
	s_cbranch_execz .LBB0_13
; %bb.10:
	v_mov_b32_e32 v5, 0
	v_lshl_add_u64 v[2:3], v[4:5], 3, v[0:1]
	v_add_co_u32_e32 v6, vcc, 0x1000, v2
	s_movk_i32 s4, 0x5b
	s_nop 0
	v_addc_co_u32_e32 v7, vcc, 0, v3, vcc
	v_add_co_u32_e32 v8, vcc, 0x2000, v2
                                        ; implicit-def: $vgpr25
	s_nop 1
	v_addc_co_u32_e32 v9, vcc, 0, v3, vcc
	global_load_dwordx2 v[20:21], v[8:9], off offset:1272
	global_load_dwordx2 v[18:19], v[8:9], off offset:2728
	global_load_dwordx2 v[16:17], v[2:3], off
	global_load_dwordx2 v[40:41], v[2:3], off offset:1456
	global_load_dwordx2 v[42:43], v[2:3], off offset:2912
	;; [unrolled: 1-line block ×3, first 2 shown]
	v_add_co_u32_e32 v8, vcc, 0x3000, v2
	s_nop 1
	v_addc_co_u32_e32 v9, vcc, 0, v3, vcc
	global_load_dwordx2 v[22:23], v[6:7], off offset:3912
	global_load_dwordx2 v[12:13], v[6:7], off offset:1728
	;; [unrolled: 1-line block ×4, first 2 shown]
	v_cmp_gt_u32_e32 vcc, s4, v4
	v_mov_b32_e32 v8, v5
	s_and_saveexec_b64 s[4:5], vcc
	s_cbranch_execz .LBB0_12
; %bb.11:
	v_add_co_u32_e32 v6, vcc, 0x1000, v2
	s_nop 1
	v_addc_co_u32_e32 v7, vcc, 0, v3, vcc
	v_add_co_u32_e32 v2, vcc, 0x3000, v2
	s_nop 1
	v_addc_co_u32_e32 v3, vcc, 0, v3, vcc
	global_load_dwordx2 v[8:9], v[6:7], off offset:3184
	global_load_dwordx2 v[24:25], v[2:3], off offset:3000
	s_waitcnt vmcnt(1)
	v_mov_b32_e32 v5, v9
.LBB0_12:
	s_or_b64 exec, exec, s[4:5]
	v_mov_b32_e32 v2, v4
	s_waitcnt vmcnt(7)
	v_mov_b32_e32 v6, v17
	s_waitcnt vmcnt(2)
	v_mov_b32_e32 v7, v13
	v_mov_b32_e32 v26, v23
	s_waitcnt vmcnt(0)
	v_mov_b32_e32 v27, v15
	v_mov_b32_e32 v9, v5
	;; [unrolled: 1-line block ×8, first 2 shown]
.LBB0_13:
	s_or_b64 exec, exec, s[2:3]
	v_pk_add_f32 v[10:11], v[8:9], v[24:25] neg_lo:[0,1] neg_hi:[0,1]
	v_add_f32_e32 v13, v8, v8
	v_mov_b32_e32 v15, v10
	v_add_f32_e32 v45, v12, v12
	v_pk_add_f32 v[12:13], v[12:13], v[14:15] neg_lo:[0,1] neg_hi:[0,1]
	v_add_f32_e32 v43, v44, v44
	v_mov_b32_e32 v47, v12
	v_pk_add_f32 v[14:15], v[44:45], v[46:47] neg_lo:[0,1] neg_hi:[0,1]
	v_add_f32_e32 v41, v42, v42
	v_mov_b32_e32 v19, v14
	;; [unrolled: 3-line block ×3, first 2 shown]
	v_pk_add_f32 v[20:21], v[40:41], v[20:21] neg_lo:[0,1] neg_hi:[0,1]
	v_lshlrev_b32_e32 v11, 3, v4
	v_mov_b32_e32 v23, v20
	v_pk_add_f32 v[22:23], v[16:17], v[22:23] neg_lo:[0,1] neg_hi:[0,1]
	v_add_u32_e32 v5, 0, v11
	v_fma_f32 v16, v16, 2.0, -v22
	v_mov_b32_e32 v17, v22
	v_add_u32_e32 v3, 0xb6, v4
	ds_write_b64 v5, v[16:17]
	v_lshl_add_u32 v8, v3, 3, 0
	v_mov_b32_e32 v40, v23
	v_mov_b32_e32 v41, v20
	v_add_u32_e32 v17, 0xb60, v11
	ds_write_b64 v8, v[40:41]
	v_add_u32_e32 v41, 0, v17
	v_mov_b32_e32 v42, v21
	v_mov_b32_e32 v43, v18
	v_add_u32_e32 v17, 0x1110, v11
	ds_write_b64 v41, v[42:43]
	v_add_u32_e32 v42, 0, v17
	v_mov_b32_e32 v44, v19
	v_mov_b32_e32 v45, v14
	v_add_u32_e32 v11, 0x16c0, v11
	s_movk_i32 s2, 0x5b
	s_movk_i32 s4, 0x5a
	ds_write_b64 v42, v[44:45]
	v_add_u32_e32 v43, 0, v11
	v_mov_b32_e32 v44, v15
	v_mov_b32_e32 v45, v12
	v_cmp_gt_u32_e64 s[2:3], s2, v4
	v_cmp_lt_u32_e32 vcc, s4, v4
	ds_write_b64 v43, v[44:45]
	s_and_saveexec_b64 s[4:5], vcc
	s_xor_b64 s[4:5], exec, s[4:5]
	s_or_saveexec_b64 s[4:5], s[4:5]
	v_add_u32_e32 v11, 0x38e, v4
	v_lshl_add_u32 v44, v11, 3, 0
	s_xor_b64 exec, exec, s[4:5]
	s_cbranch_execz .LBB0_15
; %bb.14:
	v_mov_b32_e32 v46, v13
	v_mov_b32_e32 v47, v10
	ds_write_b64 v44, v[46:47]
.LBB0_15:
	s_or_b64 exec, exec, s[4:5]
	s_movk_i32 s4, 0x99
	v_cmp_lt_u32_e32 vcc, s4, v4
	s_movk_i32 s4, 0x9a
	v_cmp_gt_u32_e64 s[4:5], s4, v4
	v_lshlrev_b32_e32 v40, 2, v4
	s_waitcnt lgkmcnt(0)
	s_barrier
	s_waitcnt lgkmcnt(0)
                                        ; implicit-def: $vgpr11
	s_and_saveexec_b64 s[6:7], s[4:5]
	s_cbranch_execz .LBB0_17
; %bb.16:
	v_sub_u32_e32 v10, v5, v40
	v_add_u32_e32 v11, 0x400, v10
	ds_read2_b32 v[12:13], v11 offset0:52 offset1:206
	v_add_u32_e32 v11, 0x900, v10
	ds_read2_b32 v[14:15], v11 offset0:40 offset1:194
	v_add_u32_e32 v11, 0xe00, v10
	v_add_u32_e32 v18, 0x1800, v10
	ds_read2_b32 v[16:17], v10 offset1:154
	ds_read2_b32 v[46:47], v18 offset0:4 offset1:158
	ds_read2_b32 v[48:49], v11 offset0:28 offset1:182
	v_add_u32_e32 v11, 0x1200, v10
	ds_read2_b32 v[50:51], v11 offset0:80 offset1:234
	ds_read_b32 v11, v10 offset:7392
	s_waitcnt lgkmcnt(6)
	v_mov_b32_e32 v23, v12
	s_waitcnt lgkmcnt(3)
	v_mov_b32_e32 v10, v47
	v_mov_b32_e32 v22, v17
	;; [unrolled: 1-line block ×5, first 2 shown]
	s_waitcnt lgkmcnt(2)
	v_mov_b32_e32 v19, v48
	v_mov_b32_e32 v14, v49
	s_waitcnt lgkmcnt(1)
	v_mov_b32_e32 v15, v50
	v_mov_b32_e32 v12, v51
	;; [unrolled: 1-line block ×3, first 2 shown]
.LBB0_17:
	s_or_b64 exec, exec, s[6:7]
	v_mov_b32_e32 v28, v9
	v_mov_b32_e32 v38, v25
	v_add_f32_e32 v30, v29, v29
	v_pk_add_f32 v[28:29], v[28:29], v[38:39] neg_lo:[0,1] neg_hi:[0,1]
	v_add_f32_e32 v32, v31, v31
	v_mov_b32_e32 v36, v29
	v_pk_add_f32 v[30:31], v[30:31], v[36:37] neg_lo:[0,1] neg_hi:[0,1]
	v_pk_add_f32 v[26:27], v[6:7], v[26:27] neg_lo:[0,1] neg_hi:[0,1]
	v_mov_b32_e32 v34, v31
	v_pk_add_f32 v[24:25], v[32:33], v[34:35] neg_lo:[0,1] neg_hi:[0,1]
	v_fma_f32 v32, v9, 2.0, -v28
	v_fma_f32 v34, v33, 2.0, -v25
	v_mov_b32_e32 v35, v25
	s_waitcnt lgkmcnt(0)
	s_barrier
	ds_write_b64 v8, v[34:35]
	v_mov_b32_e32 v8, v24
	v_mov_b32_e32 v9, v31
	v_pk_fma_f32 v[6:7], v[6:7], 2.0, v[26:27] op_sel_hi:[1,0,1] neg_lo:[0,0,1] neg_hi:[0,0,1]
	ds_write_b64 v41, v[8:9]
	v_mov_b32_e32 v8, v30
	v_mov_b32_e32 v9, v29
	v_mov_b32_e32 v36, v6
	v_mov_b32_e32 v37, v26
	ds_write_b64 v42, v[8:9]
	v_mov_b32_e32 v8, v7
	v_mov_b32_e32 v9, v27
	ds_write_b64 v5, v[36:37]
	ds_write_b64 v43, v[8:9]
	s_and_saveexec_b64 s[4:5], s[2:3]
	s_cbranch_execz .LBB0_19
; %bb.18:
	v_mov_b32_e32 v33, v28
	ds_write_b64 v44, v[32:33]
.LBB0_19:
	s_or_b64 exec, exec, s[4:5]
	s_waitcnt lgkmcnt(0)
	s_barrier
	s_waitcnt lgkmcnt(0)
                                        ; implicit-def: $vgpr8_vgpr9
	s_and_saveexec_b64 s[2:3], vcc
	s_xor_b64 s[2:3], exec, s[2:3]
; %bb.20:
	v_mov_b64_e32 v[8:9], v[6:7]
                                        ; implicit-def: $vgpr5
                                        ; implicit-def: $vgpr40
; %bb.21:
	s_or_saveexec_b64 s[2:3], s[2:3]
                                        ; implicit-def: $vgpr35
	s_xor_b64 exec, exec, s[2:3]
	s_cbranch_execz .LBB0_23
; %bb.22:
	v_sub_u32_e32 v5, v5, v40
	v_add_u32_e32 v8, 0x400, v5
	ds_read2_b32 v[24:25], v8 offset0:52 offset1:206
	v_add_u32_e32 v8, 0x900, v5
	v_add_u32_e32 v9, 0x1200, v5
	ds_read2_b32 v[6:7], v5 offset1:154
	ds_read2_b32 v[36:37], v8 offset0:40 offset1:194
	ds_read2_b32 v[38:39], v9 offset0:80 offset1:234
	v_add_u32_e32 v9, 0x1800, v5
	v_add_u32_e32 v8, 0xe00, v5
	ds_read2_b32 v[32:33], v9 offset0:4 offset1:158
	ds_read2_b32 v[30:31], v8 offset0:28 offset1:182
	ds_read_b32 v35, v5 offset:7392
	s_waitcnt lgkmcnt(5)
	v_mov_b32_e32 v8, v6
	s_waitcnt lgkmcnt(3)
	v_mov_b32_e32 v9, v38
	;; [unrolled: 2-line block ×3, first 2 shown]
	v_mov_b32_e32 v27, v39
	v_mov_b32_e32 v34, v24
	;; [unrolled: 1-line block ×4, first 2 shown]
	s_waitcnt lgkmcnt(1)
	v_mov_b32_e32 v29, v31
	v_mov_b32_e32 v31, v37
	;; [unrolled: 1-line block ×3, first 2 shown]
.LBB0_23:
	s_or_b64 exec, exec, s[2:3]
	v_and_b32_e32 v5, 1, v4
	v_mul_u32_u24_e32 v17, 12, v5
	v_lshlrev_b32_e32 v17, 3, v17
	global_load_dwordx4 v[36:39], v17, s[8:9]
	global_load_dwordx4 v[40:43], v17, s[8:9] offset:16
	global_load_dwordx4 v[44:47], v17, s[8:9] offset:32
	;; [unrolled: 1-line block ×5, first 2 shown]
	s_mov_b32 s30, 0xbf52af12
	s_mov_b32 s2, 0x3f116cb1
	;; [unrolled: 1-line block ×44, first 2 shown]
	s_waitcnt lgkmcnt(0)
	s_barrier
	s_waitcnt vmcnt(5)
	v_mul_f32_e32 v17, v26, v37
	v_mul_f32_e32 v33, v22, v37
	v_mul_f32_e32 v66, v34, v39
	v_mul_f32_e32 v37, v23, v39
	s_waitcnt vmcnt(4)
	v_mul_f32_e32 v67, v25, v41
	v_mul_f32_e32 v39, v20, v41
	v_mul_f32_e32 v68, v24, v43
	v_mul_f32_e32 v41, v21, v43
	;; [unrolled: 5-line block ×6, first 2 shown]
	v_fma_f32 v71, v26, v36, -v33
	v_fma_f32 v81, v35, v58, -v57
	v_fmac_f32_e32 v17, v22, v36
	v_fma_f32 v72, v34, v38, -v37
	v_fmac_f32_e32 v94, v12, v52
	;; [unrolled: 2-line block ×3, first 2 shown]
	v_sub_f32_e32 v12, v71, v81
	v_fmac_f32_e32 v66, v23, v38
	v_fma_f32 v73, v25, v40, -v39
	v_fmac_f32_e32 v68, v21, v42
	v_fma_f32 v74, v24, v42, -v41
	v_fmac_f32_e32 v69, v18, v44
	v_fmac_f32_e32 v91, v19, v46
	;; [unrolled: 1-line block ×3, first 2 shown]
	v_fma_f32 v79, v32, v54, -v53
	v_fmac_f32_e32 v96, v10, v56
	v_add_f32_e32 v42, v17, v97
	v_sub_f32_e32 v54, v72, v80
	v_pk_mul_f32 v[18:19], v[12:13], s[30:31] op_sel_hi:[0,1]
	v_fmac_f32_e32 v67, v20, v40
	v_add_f32_e32 v38, v66, v96
	v_sub_f32_e32 v58, v73, v79
	v_pk_mul_f32 v[20:21], v[54:55], s[28:29] op_sel_hi:[0,1]
	v_pk_fma_f32 v[10:11], v[42:43], s[2:3], v[18:19] op_sel_hi:[0,1,1] neg_lo:[0,0,1] neg_hi:[0,0,1]
	v_fmac_f32_e32 v92, v14, v48
	v_fmac_f32_e32 v93, v15, v50
	v_fma_f32 v78, v27, v52, -v51
	v_add_f32_e32 v36, v67, v95
	v_pk_mul_f32 v[22:23], v[58:59], s[34:35] op_sel_hi:[0,1]
	v_pk_fma_f32 v[14:15], v[38:39], s[4:5], v[20:21] op_sel_hi:[0,1,1] neg_lo:[0,0,1] neg_hi:[0,0,1]
	v_pk_add_f32 v[10:11], v[16:17], v[10:11] op_sel_hi:[0,1]
	v_fma_f32 v75, v31, v44, -v43
	v_fma_f32 v7, v7, v50, -v49
	v_sub_f32_e32 v60, v74, v78
	v_pk_fma_f32 v[24:25], v[36:37], s[6:7], v[22:23] op_sel_hi:[0,1,1] neg_lo:[0,0,1] neg_hi:[0,0,1]
	v_pk_add_f32 v[10:11], v[14:15], v[10:11]
	v_fma_f32 v76, v30, v46, -v45
	v_fma_f32 v77, v29, v48, -v47
	v_add_f32_e32 v34, v68, v94
	v_sub_f32_e32 v62, v75, v7
	v_pk_add_f32 v[10:11], v[24:25], v[10:11]
	v_pk_mul_f32 v[24:25], v[60:61], s[16:17] op_sel_hi:[0,1]
	v_add_f32_e32 v32, v69, v93
	v_sub_f32_e32 v64, v76, v77
	v_pk_fma_f32 v[14:15], v[34:35], s[10:11], v[24:25] op_sel_hi:[0,1,1] neg_lo:[0,0,1] neg_hi:[0,0,1]
	v_pk_mul_f32 v[26:27], v[62:63], s[44:45] op_sel_hi:[0,1]
	v_add_f32_e32 v30, v91, v92
	v_pk_add_f32 v[10:11], v[14:15], v[10:11]
	v_pk_fma_f32 v[14:15], v[32:33], s[12:13], v[26:27] op_sel_hi:[0,1,1] neg_lo:[0,0,1] neg_hi:[0,0,1]
	v_pk_mul_f32 v[28:29], v[64:65], s[42:43] op_sel_hi:[0,1]
	s_mov_b32 s29, s35
	v_pk_add_f32 v[10:11], v[14:15], v[10:11]
	v_pk_fma_f32 v[14:15], v[30:31], s[14:15], v[28:29] op_sel_hi:[0,1,1] neg_lo:[0,0,1] neg_hi:[0,0,1]
	v_pk_mul_f32 v[40:41], v[12:13], s[28:29] op_sel_hi:[0,1]
	s_mov_b32 s17, s34
	v_pk_add_f32 v[10:11], v[14:15], v[10:11]
	v_pk_fma_f32 v[14:15], v[42:43], s[24:25], v[40:41] op_sel_hi:[0,1,1] neg_lo:[0,0,1] neg_hi:[0,0,1]
	v_pk_mul_f32 v[44:45], v[54:55], s[16:17] op_sel_hi:[0,1]
	v_pk_add_f32 v[14:15], v[16:17], v[14:15] op_sel_hi:[0,1]
	v_pk_fma_f32 v[46:47], v[38:39], s[18:19], v[44:45] op_sel_hi:[0,1,1] neg_lo:[0,0,1] neg_hi:[0,0,1]
	s_mov_b32 s43, 0x3f6f5d39
	v_pk_add_f32 v[14:15], v[46:47], v[14:15]
	s_mov_b32 s16, s3
	s_mov_b32 s17, s4
	v_pk_mul_f32 v[46:47], v[58:59], s[42:43] op_sel_hi:[0,1]
	v_pk_fma_f32 v[48:49], v[36:37], s[16:17], v[46:47] op_sel_hi:[0,1,1] neg_lo:[0,0,1] neg_hi:[0,0,1]
	v_pk_add_f32 v[14:15], v[48:49], v[14:15]
	v_pk_mul_f32 v[48:49], v[60:61], s[22:23] op_sel_hi:[0,1]
	v_pk_fma_f32 v[50:51], v[34:35], s[20:21], v[48:49] op_sel_hi:[0,1,1] neg_lo:[0,0,1] neg_hi:[0,0,1]
	v_pk_add_f32 v[14:15], v[50:51], v[14:15]
	s_mov_b32 s22, s6
	s_mov_b32 s23, s2
	v_pk_mul_f32 v[50:51], v[62:63], s[40:41] op_sel_hi:[0,1]
	v_pk_fma_f32 v[52:53], v[32:33], s[22:23], v[50:51] op_sel_hi:[0,1,1] neg_lo:[0,0,1] neg_hi:[0,0,1]
	v_pk_add_f32 v[14:15], v[52:53], v[14:15]
	v_pk_mul_f32 v[52:53], v[64:65], s[46:47] op_sel_hi:[0,1]
	v_pk_fma_f32 v[56:57], v[30:31], s[26:27], v[52:53] op_sel_hi:[0,1,1] neg_lo:[0,0,1] neg_hi:[0,0,1]
	s_mov_b32 s35, s45
	v_pk_add_f32 v[14:15], v[56:57], v[14:15]
	v_pk_mul_f32 v[56:57], v[12:13], s[34:35] op_sel_hi:[0,1]
	s_mov_b32 s43, s44
	v_pk_fma_f32 v[12:13], v[42:43], s[38:39], v[56:57] op_sel_hi:[0,1,1] neg_lo:[0,0,1] neg_hi:[0,0,1]
	v_pk_mul_f32 v[54:55], v[54:55], s[42:43] op_sel_hi:[0,1]
	v_pk_add_f32 v[12:13], v[16:17], v[12:13] op_sel_hi:[0,1]
	v_pk_fma_f32 v[82:83], v[38:39], s[36:37], v[54:55] op_sel_hi:[0,1,1] neg_lo:[0,0,1] neg_hi:[0,0,1]
	s_mov_b32 s34, s10
	s_mov_b32 s35, s2
	v_pk_mul_f32 v[58:59], v[58:59], s[48:49] op_sel_hi:[0,1]
	s_mov_b32 s47, s40
	v_pk_add_f32 v[12:13], v[82:83], v[12:13]
	v_pk_fma_f32 v[82:83], v[36:37], s[34:35], v[58:59] op_sel_hi:[0,1,1] neg_lo:[0,0,1] neg_hi:[0,0,1]
	s_mov_b32 s30, s2
	s_mov_b32 s31, s6
	v_pk_mul_f32 v[60:61], v[60:61], s[46:47] op_sel_hi:[0,1]
	s_mov_b32 s29, s42
	v_pk_add_f32 v[12:13], v[82:83], v[12:13]
	;; [unrolled: 6-line block ×3, first 2 shown]
	v_pk_fma_f32 v[82:83], v[32:33], s[40:41], v[62:63] op_sel_hi:[0,1,1] neg_lo:[0,0,1] neg_hi:[0,0,1]
	s_mov_b32 s42, s7
	s_mov_b32 s43, s4
	v_pk_mul_f32 v[64:65], v[64:65], s[44:45] op_sel_hi:[0,1]
	v_pk_add_f32 v[12:13], v[82:83], v[12:13]
	v_pk_fma_f32 v[82:83], v[30:31], s[42:43], v[64:65] op_sel_hi:[0,1,1] neg_lo:[0,0,1] neg_hi:[0,0,1]
	v_pk_add_f32 v[12:13], v[82:83], v[12:13]
	s_and_saveexec_b64 s[28:29], vcc
	s_xor_b64 s[28:29], exec, s[28:29]
; %bb.24:
                                        ; implicit-def: $vgpr16
                                        ; implicit-def: $vgpr18_vgpr19
                                        ; implicit-def: $vgpr20_vgpr21
                                        ; implicit-def: $vgpr22_vgpr23
                                        ; implicit-def: $vgpr24_vgpr25
                                        ; implicit-def: $vgpr26_vgpr27
                                        ; implicit-def: $vgpr28_vgpr29
                                        ; implicit-def: $vgpr40_vgpr41
                                        ; implicit-def: $vgpr44_vgpr45
                                        ; implicit-def: $vgpr46_vgpr47
                                        ; implicit-def: $vgpr48_vgpr49
                                        ; implicit-def: $vgpr50_vgpr51
                                        ; implicit-def: $vgpr52_vgpr53
                                        ; implicit-def: $vgpr56_vgpr57
                                        ; implicit-def: $vgpr54_vgpr55
                                        ; implicit-def: $vgpr58_vgpr59
                                        ; implicit-def: $vgpr60_vgpr61
                                        ; implicit-def: $vgpr62_vgpr63
                                        ; implicit-def: $vgpr64_vgpr65
                                        ; implicit-def: $vgpr42_vgpr43
                                        ; implicit-def: $vgpr38_vgpr39
                                        ; implicit-def: $vgpr36_vgpr37
                                        ; implicit-def: $vgpr34_vgpr35
                                        ; implicit-def: $vgpr32_vgpr33
                                        ; implicit-def: $vgpr30_vgpr31
; %bb.25:
	s_or_saveexec_b64 s[28:29], s[28:29]
	v_lshrrev_b32_e32 v90, 1, v4
	s_xor_b64 exec, exec, s[28:29]
	s_cbranch_execz .LBB0_27
; %bb.26:
	v_pk_mul_f32 v[82:83], v[42:43], s[2:3] op_sel_hi:[0,1]
	v_pk_mul_f32 v[102:103], v[42:43], s[24:25] op_sel_hi:[0,1]
	;; [unrolled: 1-line block ×4, first 2 shown]
	v_pk_add_f32 v[42:43], v[42:43], v[56:57]
	v_pk_mul_f32 v[56:57], v[38:39], s[18:19] op_sel_hi:[0,1]
	v_pk_mul_f32 v[38:39], v[38:39], s[36:37] op_sel_hi:[0,1]
	;; [unrolled: 1-line block ×3, first 2 shown]
	v_pk_add_f32 v[38:39], v[38:39], v[54:55]
	v_pk_mul_f32 v[54:55], v[36:37], s[16:17] op_sel_hi:[0,1]
	v_pk_mul_f32 v[36:37], v[36:37], s[34:35] op_sel_hi:[0,1]
	v_add_f32_e32 v42, v16, v42
	v_pk_mul_f32 v[88:89], v[34:35], s[10:11] op_sel_hi:[0,1]
	v_pk_add_f32 v[36:37], v[36:37], v[58:59]
	v_pk_mul_f32 v[58:59], v[34:35], s[20:21] op_sel_hi:[0,1]
	v_pk_mul_f32 v[34:35], v[34:35], s[30:31] op_sel_hi:[0,1]
	v_add_f32_e32 v38, v38, v42
	v_pk_mul_f32 v[98:99], v[32:33], s[12:13] op_sel_hi:[0,1]
	;; [unrolled: 5-line block ×3, first 2 shown]
	v_pk_add_f32 v[32:33], v[32:33], v[62:63]
	v_pk_mul_f32 v[62:63], v[30:31], s[26:27] op_sel_hi:[0,1]
	v_pk_mul_f32 v[30:31], v[30:31], s[42:43] op_sel_hi:[0,1]
	v_add_f32_e32 v34, v34, v36
	v_add_f32_e32 v32, v32, v34
	v_pk_add_f32 v[30:31], v[30:31], v[64:65]
	v_pk_add_f32 v[18:19], v[82:83], v[18:19]
	v_add_f32_e32 v42, v30, v32
	v_add_f32_e32 v30, v16, v43
	;; [unrolled: 1-line block ×7, first 2 shown]
	v_pk_add_f32 v[30:31], v[102:103], v[40:41]
	v_add_f32_e32 v18, v16, v18
	v_add_f32_e32 v30, v16, v30
	;; [unrolled: 1-line block ×10, first 2 shown]
	v_pk_add_f32 v[20:21], v[84:85], v[20:21]
	v_add_f32_e32 v16, v16, v92
	v_pk_add_f32 v[32:33], v[56:57], v[44:45]
	v_pk_add_f32 v[22:23], v[86:87], v[22:23]
	v_add_f32_e32 v19, v21, v19
	v_add_f32_e32 v16, v16, v93
	;; [unrolled: 1-line block ×3, first 2 shown]
	v_pk_add_f32 v[34:35], v[54:55], v[46:47]
	v_add_f32_e32 v31, v33, v31
	v_add_f32_e32 v18, v20, v18
	v_pk_add_f32 v[24:25], v[88:89], v[24:25]
	v_add_f32_e32 v19, v23, v19
	v_add_f32_e32 v16, v16, v94
	;; [unrolled: 1-line block ×3, first 2 shown]
	v_pk_add_f32 v[36:37], v[58:59], v[48:49]
	v_add_f32_e32 v31, v35, v31
	v_add_f32_e32 v18, v22, v18
	v_pk_add_f32 v[26:27], v[98:99], v[26:27]
	v_add_f32_e32 v19, v25, v19
	v_add_f32_e32 v16, v16, v95
	v_mul_u32_u24_e32 v20, 26, v90
	v_add_f32_e32 v30, v36, v30
	v_pk_add_f32 v[38:39], v[60:61], v[50:51]
	v_add_f32_e32 v31, v37, v31
	v_add_f32_e32 v18, v24, v18
	v_pk_add_f32 v[28:29], v[100:101], v[28:29]
	v_add_f32_e32 v19, v27, v19
	v_add_f32_e32 v16, v16, v96
	v_or_b32_e32 v20, v20, v5
	v_add_f32_e32 v30, v38, v30
	v_pk_add_f32 v[40:41], v[62:63], v[52:53]
	v_add_f32_e32 v31, v39, v31
	v_add_f32_e32 v18, v26, v18
	;; [unrolled: 1-line block ×4, first 2 shown]
	v_lshl_add_u32 v20, v20, 2, 0
	v_add_f32_e32 v30, v40, v30
	v_add_f32_e32 v31, v41, v31
	v_add_f32_e32 v18, v28, v18
	ds_write2_b32 v20, v16, v19 offset1:2
	ds_write2_b32 v20, v18, v31 offset0:4 offset1:6
	ds_write2_b32 v20, v30, v43 offset0:8 offset1:10
	;; [unrolled: 1-line block ×5, first 2 shown]
	ds_write_b32 v20, v11 offset:96
.LBB0_27:
	s_or_b64 exec, exec, s[28:29]
	v_lshl_add_u32 v70, v4, 2, 0
	s_waitcnt lgkmcnt(0)
	s_barrier
	ds_read_b32 v82, v70
	ds_read_b32 v89, v70 offset:1144
	ds_read_b32 v88, v70 offset:2288
	;; [unrolled: 1-line block ×6, first 2 shown]
	s_movk_i32 s2, 0x68
	v_cmp_gt_u32_e64 s[2:3], s2, v4
                                        ; implicit-def: $vgpr83
	s_and_saveexec_b64 s[4:5], s[2:3]
	s_cbranch_execz .LBB0_29
; %bb.28:
	ds_read_b32 v12, v70 offset:728
	ds_read_b32 v13, v70 offset:1872
	;; [unrolled: 1-line block ×7, first 2 shown]
.LBB0_29:
	s_or_b64 exec, exec, s[4:5]
	s_mov_b32 s24, 0x3df6dbef
	v_add_f32_e32 v16, v71, v81
	s_mov_b32 s25, 0x3f116cb1
	s_mov_b32 s4, 0xbf7e222b
	;; [unrolled: 1-line block ×3, first 2 shown]
	v_sub_f32_e32 v26, v17, v97
	v_add_f32_e32 v56, v72, v80
	v_pk_mul_f32 v[22:23], v[16:17], s[24:25] op_sel_hi:[0,1]
	s_mov_b32 s5, 0xbf52af12
	s_mov_b32 s23, 0xbeb58ec6
	;; [unrolled: 1-line block ×3, first 2 shown]
	v_sub_f32_e32 v28, v66, v96
	v_add_f32_e32 v60, v73, v79
	v_pk_fma_f32 v[18:19], v[26:27], s[4:5], v[22:23] op_sel_hi:[0,1,1]
	v_pk_mul_f32 v[24:25], v[56:57], s[22:23] op_sel_hi:[0,1]
	s_mov_b32 s7, 0xbf6f5d39
	s_mov_b32 s26, s23
	;; [unrolled: 1-line block ×4, first 2 shown]
	v_sub_f32_e32 v30, v67, v95
	v_add_f32_e32 v64, v74, v78
	v_pk_add_f32 v[18:19], v[8:9], v[18:19] op_sel_hi:[0,1]
	v_pk_fma_f32 v[20:21], v[28:29], s[6:7], v[24:25] op_sel_hi:[0,1,1]
	v_pk_mul_f32 v[32:33], v[60:61], s[26:27] op_sel_hi:[0,1]
	s_mov_b32 s10, 0x3f6f5d39
	s_mov_b32 s11, s6
	;; [unrolled: 1-line block ×4, first 2 shown]
	v_sub_f32_e32 v34, v68, v94
	v_add_f32_e32 v66, v75, v7
	v_pk_add_f32 v[18:19], v[20:21], v[18:19]
	v_pk_fma_f32 v[20:21], v[30:31], s[10:11], v[32:33] op_sel_hi:[0,1,1]
	v_pk_mul_f32 v[40:41], v[64:65], s[28:29] op_sel_hi:[0,1]
	s_mov_b32 s13, 0x3f29c268
	s_mov_b32 s30, s25
	;; [unrolled: 1-line block ×3, first 2 shown]
	v_sub_f32_e32 v36, v69, v93
	v_add_f32_e32 v68, v76, v77
	v_pk_add_f32 v[18:19], v[20:21], v[18:19]
	v_pk_fma_f32 v[20:21], v[34:35], s[12:13], v[40:41] op_sel_hi:[0,1,1]
	v_pk_mul_f32 v[42:43], v[66:67], s[30:31] op_sel_hi:[0,1]
	s_mov_b32 s15, 0x3f7e222b
	s_mov_b32 s14, s5
	;; [unrolled: 1-line block ×4, first 2 shown]
	v_sub_f32_e32 v38, v91, v92
	v_pk_add_f32 v[18:19], v[20:21], v[18:19]
	v_pk_fma_f32 v[20:21], v[36:37], s[14:15], v[42:43] op_sel_hi:[0,1,1]
	v_pk_mul_f32 v[46:47], v[68:69], s[34:35] op_sel_hi:[0,1]
	s_mov_b32 s16, 0xbf29c268
	s_mov_b32 s17, s12
	v_pk_add_f32 v[18:19], v[20:21], v[18:19]
	v_pk_fma_f32 v[20:21], v[38:39], s[16:17], v[46:47] op_sel_hi:[0,1,1]
	v_pk_mul_f32 v[44:45], v[16:17], s[28:29] op_sel_hi:[0,1]
	s_mov_b32 s18, 0xbeedf032
	s_mov_b32 s19, s16
	v_pk_add_f32 v[18:19], v[20:21], v[18:19]
	v_pk_fma_f32 v[20:21], v[26:27], s[18:19], v[44:45] op_sel_hi:[0,1,1]
	v_pk_mul_f32 v[48:49], v[56:57], s[30:31] op_sel_hi:[0,1]
	v_pk_add_f32 v[20:21], v[8:9], v[20:21] op_sel_hi:[0,1]
	v_pk_fma_f32 v[50:51], v[28:29], s[14:15], v[48:49] op_sel_hi:[0,1,1]
	v_pk_add_f32 v[20:21], v[50:51], v[20:21]
	v_pk_mul_f32 v[50:51], v[60:61], s[24:25] op_sel_hi:[0,1]
	v_pk_fma_f32 v[52:53], v[30:31], s[4:5], v[50:51] op_sel_hi:[0,1,1]
	v_pk_add_f32 v[20:21], v[52:53], v[20:21]
	v_pk_mul_f32 v[52:53], v[64:65], s[26:27] op_sel_hi:[0,1]
	s_mov_b32 s21, 0x3e750f2a
	s_mov_b32 s20, s7
	v_pk_fma_f32 v[54:55], v[34:35], s[20:21], v[52:53] op_sel_hi:[0,1,1]
	v_pk_mul_f32 v[58:59], v[66:67], s[34:35] op_sel_hi:[0,1]
	v_pk_add_f32 v[20:21], v[54:55], v[20:21]
	v_pk_fma_f32 v[54:55], v[36:37], s[16:17], v[58:59] op_sel_hi:[0,1,1]
	v_pk_mul_f32 v[62:63], v[68:69], s[22:23] op_sel_hi:[0,1]
	v_pk_add_f32 v[20:21], v[54:55], v[20:21]
	v_pk_fma_f32 v[54:55], v[38:39], s[6:7], v[62:63] op_sel_hi:[0,1,1]
	v_pk_add_f32 v[20:21], v[54:55], v[20:21]
	v_pk_mul_f32 v[54:55], v[16:17], s[22:23] op_sel_hi:[0,1]
	v_pk_fma_f32 v[16:17], v[26:27], s[6:7], v[54:55] op_sel_hi:[0,1,1]
	v_pk_mul_f32 v[56:57], v[56:57], s[28:29] op_sel_hi:[0,1]
	v_pk_add_f32 v[16:17], v[8:9], v[16:17] op_sel_hi:[0,1]
	v_pk_fma_f32 v[92:93], v[28:29], s[12:13], v[56:57] op_sel_hi:[0,1,1]
	v_pk_mul_f32 v[60:61], v[60:61], s[34:35] op_sel_hi:[0,1]
	v_pk_add_f32 v[16:17], v[92:93], v[16:17]
	v_pk_fma_f32 v[92:93], v[30:31], s[16:17], v[60:61] op_sel_hi:[0,1,1]
	v_pk_mul_f32 v[64:65], v[64:65], s[30:31] op_sel_hi:[0,1]
	s_mov_b32 s22, 0x3f52af12
	s_mov_b32 s23, s4
	v_pk_add_f32 v[16:17], v[92:93], v[16:17]
	v_pk_fma_f32 v[92:93], v[34:35], s[22:23], v[64:65] op_sel_hi:[0,1,1]
	v_pk_mul_f32 v[66:67], v[66:67], s[26:27] op_sel_hi:[0,1]
	v_pk_add_f32 v[16:17], v[92:93], v[16:17]
	v_pk_fma_f32 v[92:93], v[36:37], s[20:21], v[66:67] op_sel_hi:[0,1,1]
	v_pk_mul_f32 v[68:69], v[68:69], s[24:25] op_sel_hi:[0,1]
	s_mov_b32 s24, s15
	s_mov_b32 s25, s22
	v_pk_add_f32 v[16:17], v[92:93], v[16:17]
	v_pk_fma_f32 v[92:93], v[38:39], s[24:25], v[68:69] op_sel_hi:[0,1,1]
	v_pk_add_f32 v[16:17], v[92:93], v[16:17]
	s_waitcnt lgkmcnt(0)
	s_barrier
	s_and_saveexec_b64 s[26:27], vcc
	s_xor_b64 s[26:27], exec, s[26:27]
; %bb.30:
                                        ; implicit-def: $vgpr8_vgpr9
                                        ; implicit-def: $vgpr6
                                        ; implicit-def: $vgpr5
                                        ; implicit-def: $vgpr71
                                        ; implicit-def: $vgpr72
                                        ; implicit-def: $vgpr73
                                        ; implicit-def: $vgpr74
                                        ; implicit-def: $vgpr75
                                        ; implicit-def: $vgpr76
                                        ; implicit-def: $vgpr77
                                        ; implicit-def: $vgpr7
                                        ; implicit-def: $vgpr78
                                        ; implicit-def: $vgpr79
                                        ; implicit-def: $vgpr80
                                        ; implicit-def: $vgpr81
                                        ; implicit-def: $vgpr22_vgpr23
                                        ; implicit-def: $vgpr24_vgpr25
                                        ; implicit-def: $vgpr32_vgpr33
                                        ; implicit-def: $vgpr40_vgpr41
                                        ; implicit-def: $vgpr42_vgpr43
                                        ; implicit-def: $vgpr46_vgpr47
                                        ; implicit-def: $vgpr44_vgpr45
                                        ; implicit-def: $vgpr48_vgpr49
                                        ; implicit-def: $vgpr50_vgpr51
                                        ; implicit-def: $vgpr52_vgpr53
                                        ; implicit-def: $vgpr58_vgpr59
                                        ; implicit-def: $vgpr62_vgpr63
                                        ; implicit-def: $vgpr54_vgpr55
                                        ; implicit-def: $vgpr56_vgpr57
                                        ; implicit-def: $vgpr60_vgpr61
                                        ; implicit-def: $vgpr64_vgpr65
                                        ; implicit-def: $vgpr66_vgpr67
                                        ; implicit-def: $vgpr68_vgpr69
                                        ; implicit-def: $vgpr26_vgpr27
                                        ; implicit-def: $vgpr28_vgpr29
                                        ; implicit-def: $vgpr30_vgpr31
                                        ; implicit-def: $vgpr34_vgpr35
                                        ; implicit-def: $vgpr36_vgpr37
                                        ; implicit-def: $vgpr38_vgpr39
                                        ; implicit-def: $vgpr90
; %bb.31:
	s_andn2_saveexec_b64 s[26:27], s[26:27]
	s_cbranch_execz .LBB0_33
; %bb.32:
	v_add_f32_e32 v6, v6, v71
	v_add_f32_e32 v6, v6, v72
	v_add_f32_e32 v6, v6, v73
	v_add_f32_e32 v6, v6, v74
	v_add_f32_e32 v6, v6, v75
	v_add_f32_e32 v6, v6, v76
	v_add_f32_e32 v6, v6, v77
	v_add_f32_e32 v6, v6, v7
	v_add_f32_e32 v6, v6, v78
	v_add_f32_e32 v6, v6, v79
	v_pk_mul_f32 v[92:93], v[26:27], s[4:5] op_sel_hi:[0,1]
	v_add_f32_e32 v6, v6, v80
	v_pk_mul_f32 v[94:95], v[28:29], s[6:7] op_sel_hi:[0,1]
	v_add_f32_e32 v9, v6, v81
	v_pk_add_f32 v[6:7], v[22:23], v[92:93] neg_lo:[0,1] neg_hi:[0,1]
	v_pk_mul_f32 v[96:97], v[30:31], s[10:11] op_sel_hi:[0,1]
	v_pk_add_f32 v[22:23], v[24:25], v[94:95] neg_lo:[0,1] neg_hi:[0,1]
	v_add_f32_e32 v7, v8, v7
	v_add_f32_e32 v6, v8, v6
	v_pk_mul_f32 v[98:99], v[34:35], s[12:13] op_sel_hi:[0,1]
	v_pk_add_f32 v[24:25], v[32:33], v[96:97] neg_lo:[0,1] neg_hi:[0,1]
	v_add_f32_e32 v7, v23, v7
	v_add_f32_e32 v6, v22, v6
	;; [unrolled: 4-line block ×5, first 2 shown]
	v_pk_mul_f32 v[106:107], v[28:29], s[14:15] op_sel_hi:[0,1]
	v_add_f32_e32 v46, v43, v7
	v_add_f32_e32 v47, v42, v6
	v_pk_add_f32 v[6:7], v[44:45], v[104:105] neg_lo:[0,1] neg_hi:[0,1]
	v_pk_mul_f32 v[108:109], v[30:31], s[4:5] op_sel_hi:[0,1]
	v_pk_add_f32 v[22:23], v[48:49], v[106:107] neg_lo:[0,1] neg_hi:[0,1]
	v_add_f32_e32 v6, v8, v6
	v_pk_mul_f32 v[110:111], v[34:35], s[20:21] op_sel_hi:[0,1]
	v_pk_add_f32 v[24:25], v[50:51], v[108:109] neg_lo:[0,1] neg_hi:[0,1]
	v_add_f32_e32 v6, v22, v6
	;; [unrolled: 3-line block ×4, first 2 shown]
	v_pk_add_f32 v[42:43], v[62:63], v[114:115] neg_lo:[0,1] neg_hi:[0,1]
	v_add_f32_e32 v6, v40, v6
	v_add_f32_e32 v32, v42, v6
	;; [unrolled: 1-line block ×6, first 2 shown]
	v_pk_mul_f32 v[26:27], v[26:27], s[6:7] op_sel_hi:[0,1]
	v_add_f32_e32 v6, v41, v6
	v_pk_mul_f32 v[28:29], v[28:29], s[12:13] op_sel_hi:[0,1]
	v_add_f32_e32 v33, v43, v6
	v_pk_add_f32 v[6:7], v[54:55], v[26:27] neg_lo:[0,1] neg_hi:[0,1]
	v_pk_mul_f32 v[30:31], v[30:31], s[16:17] op_sel_hi:[0,1]
	v_pk_add_f32 v[22:23], v[56:57], v[28:29] neg_lo:[0,1] neg_hi:[0,1]
	v_add_f32_e32 v7, v8, v7
	v_add_f32_e32 v6, v8, v6
	v_pk_mul_f32 v[34:35], v[34:35], s[22:23] op_sel_hi:[0,1]
	v_pk_add_f32 v[24:25], v[60:61], v[30:31] neg_lo:[0,1] neg_hi:[0,1]
	v_add_f32_e32 v7, v23, v7
	v_add_f32_e32 v6, v22, v6
	;; [unrolled: 4-line block ×3, first 2 shown]
	v_mul_u32_u24_e32 v8, 26, v90
	v_pk_mul_f32 v[38:39], v[38:39], s[24:25] op_sel_hi:[0,1]
	v_pk_add_f32 v[28:29], v[66:67], v[36:37] neg_lo:[0,1] neg_hi:[0,1]
	v_add_f32_e32 v7, v27, v7
	v_add_f32_e32 v6, v26, v6
	v_or_b32_e32 v5, v8, v5
	v_pk_add_f32 v[30:31], v[68:69], v[38:39] neg_lo:[0,1] neg_hi:[0,1]
	v_add_f32_e32 v7, v29, v7
	v_add_f32_e32 v6, v28, v6
	v_lshl_add_u32 v5, v5, 2, 0
	v_add_f32_e32 v7, v31, v7
	v_add_f32_e32 v6, v30, v6
	ds_write2_b32 v5, v9, v32 offset1:2
	ds_write2_b32 v5, v46, v47 offset0:4 offset1:6
	ds_write2_b32 v5, v7, v33 offset0:8 offset1:10
	;; [unrolled: 1-line block ×5, first 2 shown]
	ds_write_b32 v5, v20 offset:96
.LBB0_33:
	s_or_b64 exec, exec, s[26:27]
	s_waitcnt lgkmcnt(0)
	s_barrier
	ds_read_b32 v6, v70
	ds_read_b32 v30, v70 offset:1144
	ds_read_b32 v29, v70 offset:2288
	;; [unrolled: 1-line block ×6, first 2 shown]
                                        ; implicit-def: $vgpr7
	s_and_saveexec_b64 s[4:5], s[2:3]
	s_cbranch_execz .LBB0_35
; %bb.34:
	ds_read_b32 v16, v70 offset:728
	ds_read_b32 v21, v70 offset:1872
	;; [unrolled: 1-line block ×7, first 2 shown]
.LBB0_35:
	s_or_b64 exec, exec, s[4:5]
	s_movk_i32 s4, 0x4f
	v_mul_lo_u16_sdwa v5, v4, s4 dst_sel:DWORD dst_unused:UNUSED_PAD src0_sel:BYTE_0 src1_sel:DWORD
	v_lshrrev_b16_e32 v62, 11, v5
	v_mul_lo_u16_e32 v5, 26, v62
	v_sub_u16_e32 v63, v4, v5
	v_mov_b32_e32 v5, 6
	v_mul_u32_u24_sdwa v5, v63, v5 dst_sel:DWORD dst_unused:UNUSED_PAD src0_sel:BYTE_0 src1_sel:DWORD
	s_movk_i32 s4, 0x4ec5
	v_lshlrev_b32_e32 v22, 3, v5
	v_mul_u32_u24_sdwa v5, v3, s4 dst_sel:DWORD dst_unused:UNUSED_PAD src0_sel:WORD_0 src1_sel:DWORD
	v_lshrrev_b32_e32 v5, 19, v5
	v_mul_lo_u16_e32 v23, 26, v5
	v_sub_u16_e32 v64, v3, v23
	v_mul_u32_u24_e32 v3, 6, v64
	global_load_dwordx4 v[38:41], v22, s[8:9] offset:192
	global_load_dwordx4 v[42:45], v22, s[8:9] offset:208
	;; [unrolled: 1-line block ×3, first 2 shown]
	v_lshlrev_b32_e32 v3, 3, v3
	global_load_dwordx4 v[50:53], v3, s[8:9] offset:192
	global_load_dwordx4 v[54:57], v3, s[8:9] offset:208
	;; [unrolled: 1-line block ×3, first 2 shown]
	s_mov_b32 s6, 0xbf5ff5aa
	s_mov_b32 s7, 0x3f3bfb3b
	;; [unrolled: 1-line block ×4, first 2 shown]
	s_waitcnt lgkmcnt(0)
	s_barrier
	s_waitcnt vmcnt(5)
	v_mul_f32_e32 v31, v30, v39
	v_mul_f32_e32 v32, v29, v41
	s_waitcnt vmcnt(3)
	v_mul_f32_e32 v35, v9, v47
	v_mul_f32_e32 v36, v8, v49
	;; [unrolled: 1-line block ×10, first 2 shown]
	s_waitcnt vmcnt(2)
	v_mul_f32_e32 v3, v21, v51
	v_mul_f32_e32 v49, v13, v51
	v_mul_f32_e32 v22, v17, v53
	v_mul_f32_e32 v51, v14, v53
	s_waitcnt vmcnt(1)
	v_mul_f32_e32 v23, v18, v55
	v_mul_f32_e32 v53, v15, v55
	;; [unrolled: 1-line block ×4, first 2 shown]
	s_waitcnt vmcnt(0)
	v_mul_f32_e32 v25, v20, v59
	v_mul_f32_e32 v57, v11, v59
	;; [unrolled: 1-line block ×3, first 2 shown]
	v_fmac_f32_e32 v31, v89, v38
	v_fmac_f32_e32 v32, v88, v40
	v_fmac_f32_e32 v35, v85, v46
	v_fmac_f32_e32 v36, v84, v48
	v_mul_f32_e32 v26, v7, v61
	v_fma_f32 v30, v30, v38, -v37
	v_fma_f32 v37, v29, v40, -v39
	v_fmac_f32_e32 v33, v87, v42
	v_fma_f32 v38, v28, v42, -v41
	v_fmac_f32_e32 v34, v86, v44
	v_fma_f32 v39, v27, v44, -v43
	v_fma_f32 v9, v9, v46, -v45
	v_fmac_f32_e32 v25, v11, v58
	v_fma_f32 v28, v7, v60, -v59
	v_add_f32_e32 v7, v31, v36
	v_add_f32_e32 v11, v32, v35
	v_fma_f32 v8, v8, v48, -v47
	v_fmac_f32_e32 v3, v13, v50
	v_fmac_f32_e32 v22, v14, v52
	;; [unrolled: 1-line block ×3, first 2 shown]
	v_fma_f32 v15, v18, v54, -v53
	v_fma_f32 v27, v19, v56, -v55
	v_sub_f32_e32 v13, v37, v9
	v_add_f32_e32 v14, v33, v34
	v_sub_f32_e32 v18, v39, v38
	v_add_f32_e32 v19, v11, v7
	v_fmac_f32_e32 v24, v10, v56
	v_sub_f32_e32 v10, v30, v8
	v_sub_f32_e32 v29, v11, v7
	;; [unrolled: 1-line block ×4, first 2 shown]
	v_add_f32_e32 v40, v18, v13
	v_sub_f32_e32 v41, v18, v13
	v_add_f32_e32 v14, v14, v19
	v_sub_f32_e32 v18, v10, v18
	v_sub_f32_e32 v13, v13, v10
	v_add_f32_e32 v10, v40, v10
	v_mul_f32_e32 v7, 0x3f4a47b2, v7
	v_mul_f32_e32 v19, 0x3d64c772, v11
	;; [unrolled: 1-line block ×3, first 2 shown]
	v_add_f32_e32 v42, v82, v14
	v_mul_f32_e32 v41, 0xbf5ff5aa, v13
	v_fma_f32 v19, v29, s7, -v19
	v_fmamk_f32 v14, v14, 0xbf955555, v42
	v_fma_f32 v29, v29, s10, -v7
	v_fmac_f32_e32 v7, 0x3d64c772, v11
	v_fma_f32 v11, v13, s6, -v40
	v_fmac_f32_e32 v40, 0xbeae86e6, v18
	v_fma_f32 v13, v18, s11, -v41
	v_add_f32_e32 v18, v19, v14
	v_fmac_f32_e32 v11, 0xbee1c552, v10
	v_add_f32_e32 v7, v7, v14
	v_add_f32_e32 v14, v29, v14
	v_fmac_f32_e32 v13, 0xbee1c552, v10
	v_sub_f32_e32 v29, v18, v11
	v_add_f32_e32 v11, v11, v18
	v_mov_b32_e32 v18, 2
	v_fmac_f32_e32 v40, 0xbee1c552, v10
	v_add_f32_e32 v19, v13, v14
	v_sub_f32_e32 v13, v14, v13
	v_mul_u32_u24_e32 v14, 0x2d8, v62
	v_lshlrev_b32_sdwa v18, v18, v63 dst_sel:DWORD dst_unused:UNUSED_PAD src0_sel:DWORD src1_sel:BYTE_0
	v_add_f32_e32 v10, v40, v7
	v_sub_f32_e32 v7, v7, v40
	v_add3_u32 v40, 0, v14, v18
	v_fma_f32 v21, v21, v50, -v49
	v_fma_f32 v17, v17, v52, -v51
	;; [unrolled: 1-line block ×3, first 2 shown]
	v_fmac_f32_e32 v26, v83, v60
	ds_write2_b32 v40, v42, v10 offset1:26
	ds_write2_b32 v40, v19, v29 offset0:52 offset1:78
	ds_write2_b32 v40, v11, v13 offset0:104 offset1:130
	ds_write_b32 v40, v7 offset:624
	v_lshlrev_b32_e32 v29, 2, v64
	s_and_saveexec_b64 s[4:5], s[2:3]
	s_cbranch_execz .LBB0_37
; %bb.36:
	v_add_f32_e32 v7, v3, v26
	v_add_f32_e32 v13, v22, v25
	;; [unrolled: 1-line block ×4, first 2 shown]
	v_sub_f32_e32 v41, v27, v15
	v_sub_f32_e32 v43, v17, v20
	;; [unrolled: 1-line block ×4, first 2 shown]
	v_add_f32_e32 v10, v10, v19
	v_sub_f32_e32 v19, v21, v28
	v_sub_f32_e32 v44, v41, v43
	v_mul_f32_e32 v11, 0x3f4a47b2, v11
	v_mul_f32_e32 v18, 0x3d64c772, v14
	v_add_f32_e32 v12, v12, v10
	v_sub_f32_e32 v42, v19, v41
	v_mul_f32_e32 v44, 0x3f08b237, v44
	v_add_f32_e32 v41, v41, v43
	v_sub_f32_e32 v7, v13, v7
	v_sub_f32_e32 v13, v43, v19
	v_fmamk_f32 v14, v14, 0x3d64c772, v11
	v_fmamk_f32 v10, v10, 0xbf955555, v12
	v_fmamk_f32 v45, v42, 0xbeae86e6, v44
	v_add_f32_e32 v41, v41, v19
	v_fma_f32 v11, v7, s10, -v11
	v_mul_f32_e32 v19, 0xbf5ff5aa, v13
	v_fma_f32 v13, v13, s6, -v44
	v_fma_f32 v7, v7, s7, -v18
	v_add_f32_e32 v14, v14, v10
	v_fmac_f32_e32 v45, 0xbee1c552, v41
	v_fmac_f32_e32 v13, 0xbee1c552, v41
	v_add_f32_e32 v7, v7, v10
	v_sub_f32_e32 v46, v14, v45
	v_add_f32_e32 v11, v11, v10
	v_add_f32_e32 v10, v13, v7
	v_sub_f32_e32 v7, v7, v13
	v_add_f32_e32 v13, v45, v14
	v_mul_lo_u16_e32 v14, 0xb6, v5
	v_fma_f32 v19, v42, s11, -v19
	v_lshlrev_b32_e32 v14, 2, v14
	v_fmac_f32_e32 v19, 0xbee1c552, v41
	v_add3_u32 v14, 0, v29, v14
	v_sub_f32_e32 v42, v11, v19
	v_add_f32_e32 v11, v19, v11
	ds_write2_b32 v14, v12, v13 offset1:26
	ds_write2_b32 v14, v11, v7 offset0:52 offset1:78
	ds_write2_b32 v14, v10, v42 offset0:104 offset1:130
	ds_write_b32 v14, v46 offset:624
.LBB0_37:
	s_or_b64 exec, exec, s[4:5]
	v_add_f32_e32 v7, v30, v8
	v_add_f32_e32 v9, v37, v9
	v_sub_f32_e32 v10, v32, v35
	v_add_f32_e32 v11, v38, v39
	v_sub_f32_e32 v12, v34, v33
	;; [unrolled: 2-line block ×3, first 2 shown]
	v_sub_f32_e32 v14, v9, v7
	v_sub_f32_e32 v7, v7, v11
	;; [unrolled: 1-line block ×4, first 2 shown]
	v_add_f32_e32 v11, v11, v13
	v_add_f32_e32 v18, v12, v10
	v_sub_f32_e32 v12, v8, v12
	v_sub_f32_e32 v10, v10, v8
	v_add_f32_e32 v30, v6, v11
	v_mul_f32_e32 v6, 0x3f4a47b2, v7
	v_mul_f32_e32 v7, 0x3d64c772, v9
	;; [unrolled: 1-line block ×3, first 2 shown]
	v_add_f32_e32 v8, v18, v8
	v_mul_f32_e32 v18, 0xbf5ff5aa, v10
	v_fmamk_f32 v11, v11, 0xbf955555, v30
	v_fma_f32 v7, v14, s7, -v7
	v_fma_f32 v14, v14, s10, -v6
	v_fmac_f32_e32 v6, 0x3d64c772, v9
	v_fma_f32 v9, v10, s6, -v13
	v_fmac_f32_e32 v13, 0xbeae86e6, v12
	v_fma_f32 v10, v12, s11, -v18
	v_add_f32_e32 v6, v6, v11
	v_fmac_f32_e32 v13, 0xbee1c552, v8
	v_add_f32_e32 v7, v7, v11
	v_add_f32_e32 v11, v14, v11
	v_fmac_f32_e32 v10, 0xbee1c552, v8
	v_sub_f32_e32 v31, v6, v13
	v_add_f32_e32 v36, v13, v6
	v_add_u32_e32 v6, 0x500, v70
	v_fmac_f32_e32 v9, 0xbee1c552, v8
	v_sub_f32_e32 v32, v11, v10
	v_add_f32_e32 v35, v10, v11
	s_waitcnt lgkmcnt(0)
	s_barrier
	ds_read2_b32 v[12:13], v6 offset0:44 offset1:226
	v_add_u32_e32 v6, 0xb00, v70
	v_add_u32_e32 v8, 0x1000, v70
	;; [unrolled: 1-line block ×3, first 2 shown]
	v_add_f32_e32 v33, v9, v7
	v_sub_f32_e32 v34, v7, v9
	ds_read2_b32 v[18:19], v70 offset1:182
	ds_read2_b32 v[6:7], v6 offset0:24 offset1:206
	ds_read2_b32 v[8:9], v8 offset0:68 offset1:250
	;; [unrolled: 1-line block ×3, first 2 shown]
	ds_read_b32 v14, v70 offset:7280
	s_waitcnt lgkmcnt(0)
	s_barrier
	ds_write2_b32 v40, v30, v31 offset1:26
	ds_write2_b32 v40, v32, v33 offset0:52 offset1:78
	ds_write2_b32 v40, v34, v35 offset0:104 offset1:130
	ds_write_b32 v40, v36 offset:624
	s_and_saveexec_b64 s[4:5], s[2:3]
	s_cbranch_execz .LBB0_39
; %bb.38:
	v_add_f32_e32 v21, v21, v28
	v_add_f32_e32 v17, v17, v20
	;; [unrolled: 1-line block ×3, first 2 shown]
	v_sub_f32_e32 v20, v22, v25
	v_sub_f32_e32 v22, v24, v23
	v_add_f32_e32 v23, v17, v21
	v_sub_f32_e32 v24, v17, v21
	v_sub_f32_e32 v17, v15, v17
	;; [unrolled: 1-line block ×4, first 2 shown]
	v_add_f32_e32 v25, v22, v20
	v_sub_f32_e32 v26, v22, v20
	v_add_f32_e32 v15, v15, v23
	v_mul_f32_e32 v23, 0x3d64c772, v17
	s_mov_b32 s3, 0x3f3bfb3b
	v_sub_f32_e32 v22, v3, v22
	v_sub_f32_e32 v20, v20, v3
	v_add_f32_e32 v3, v25, v3
	v_add_f32_e32 v16, v16, v15
	v_mul_f32_e32 v21, 0x3f4a47b2, v21
	v_mul_f32_e32 v25, 0x3f08b237, v26
	s_mov_b32 s2, 0xbf5ff5aa
	v_fma_f32 v23, v24, s3, -v23
	s_mov_b32 s3, 0xbf3bfb3b
	v_mul_f32_e32 v26, 0xbf5ff5aa, v20
	v_fmamk_f32 v15, v15, 0xbf955555, v16
	v_fma_f32 v24, v24, s3, -v21
	v_fmac_f32_e32 v21, 0x3d64c772, v17
	v_fmamk_f32 v17, v22, 0xbeae86e6, v25
	v_fma_f32 v20, v20, s2, -v25
	s_mov_b32 s2, 0x3eae86e6
	v_mul_lo_u16_e32 v5, 0xb6, v5
	v_fma_f32 v22, v22, s2, -v26
	v_add_f32_e32 v21, v21, v15
	v_fmac_f32_e32 v17, 0xbee1c552, v3
	v_lshlrev_b32_e32 v5, 2, v5
	v_add_f32_e32 v23, v23, v15
	v_add_f32_e32 v15, v24, v15
	v_fmac_f32_e32 v20, 0xbee1c552, v3
	v_fmac_f32_e32 v22, 0xbee1c552, v3
	v_sub_f32_e32 v3, v21, v17
	v_add3_u32 v5, 0, v29, v5
	v_sub_f32_e32 v24, v15, v22
	v_add_f32_e32 v25, v20, v23
	v_sub_f32_e32 v20, v23, v20
	v_add_f32_e32 v15, v22, v15
	v_add_f32_e32 v17, v17, v21
	ds_write2_b32 v5, v16, v3 offset1:26
	ds_write2_b32 v5, v24, v25 offset0:52 offset1:78
	ds_write2_b32 v5, v20, v15 offset0:104 offset1:130
	ds_write_b32 v5, v17 offset:624
.LBB0_39:
	s_or_b64 exec, exec, s[4:5]
	s_waitcnt lgkmcnt(0)
	s_barrier
	s_and_saveexec_b64 s[2:3], s[0:1]
	s_cbranch_execz .LBB0_41
; %bb.40:
	v_mul_u32_u24_e32 v3, 10, v4
	v_lshlrev_b32_e32 v3, 3, v3
	global_load_dwordx4 v[20:23], v3, s[8:9] offset:1504
	global_load_dwordx4 v[24:27], v3, s[8:9] offset:1440
	;; [unrolled: 1-line block ×5, first 2 shown]
	v_add_u32_e32 v5, 0x500, v70
	ds_read2_b32 v[16:17], v70 offset1:182
	ds_read_b32 v40, v70 offset:7280
	v_add_u32_e32 v15, 0x1600, v70
	v_add_u32_e32 v41, 0xb00, v70
	;; [unrolled: 1-line block ×3, first 2 shown]
	ds_read2_b32 v[60:61], v5 offset0:44 offset1:226
	ds_read2_b32 v[62:63], v15 offset0:48 offset1:230
	;; [unrolled: 1-line block ×4, first 2 shown]
	v_mov_b32_e32 v3, 0
	v_lshl_add_u64 v[0:1], v[2:3], 3, v[0:1]
	s_waitcnt lgkmcnt(5)
	v_mov_b32_e32 v2, v17
	v_mov_b32_e32 v4, v18
	;; [unrolled: 1-line block ×5, first 2 shown]
	s_waitcnt lgkmcnt(2)
	v_mov_b32_e32 v16, v63
	v_mov_b32_e32 v68, v61
	s_waitcnt lgkmcnt(0)
	v_mov_b32_e32 v70, v67
	v_mov_b32_e32 v72, v65
	;; [unrolled: 1-line block ×8, first 2 shown]
	s_mov_b32 s4, 0xbf0a6770
	v_mov_b32_e32 v50, v9
	v_mov_b32_e32 v52, v9
	s_mov_b32 s2, 0x3f575c64
	s_mov_b32 s18, 0xbf68dda4
	s_movk_i32 s1, 0x1000
	s_mov_b32 s0, 0x3ed4b147
	s_mov_b32 s10, 0xbf7d64f0
	;; [unrolled: 1-line block ×9, first 2 shown]
	s_waitcnt vmcnt(4)
	v_pk_mul_f32 v[40:41], v[40:41], v[22:23] op_sel_hi:[0,1]
	s_waitcnt vmcnt(3)
	v_pk_mul_f32 v[2:3], v[2:3], v[24:25] op_sel_hi:[0,1]
	v_pk_mul_f32 v[16:17], v[16:17], v[20:21] op_sel_hi:[0,1]
	v_mov_b32_e32 v74, v27
	v_mov_b32_e32 v75, v26
	v_pk_mul_f32 v[12:13], v[12:13], v[26:27] op_sel_hi:[0,1]
	s_waitcnt vmcnt(2)
	v_pk_mul_f32 v[26:27], v[62:63], v[30:31] op_sel_hi:[0,1]
	s_waitcnt vmcnt(1)
	v_pk_mul_f32 v[62:63], v[68:69], v[32:33] op_sel_hi:[0,1]
	v_pk_mul_f32 v[68:69], v[70:71], v[28:29] op_sel_hi:[0,1]
	;; [unrolled: 1-line block ×3, first 2 shown]
	s_waitcnt vmcnt(0)
	v_pk_mul_f32 v[70:71], v[72:73], v[36:37] op_sel_hi:[0,1]
	v_pk_fma_f32 v[72:73], v[14:15], v[22:23], v[40:41] op_sel:[0,0,1] op_sel_hi:[1,1,0]
	v_pk_fma_f32 v[14:15], v[14:15], v[22:23], v[40:41] op_sel:[0,0,1] op_sel_hi:[0,1,0] neg_lo:[1,0,0] neg_hi:[1,0,0]
	v_pk_fma_f32 v[18:19], v[18:19], v[24:25], v[2:3] op_sel:[0,0,1] op_sel_hi:[1,1,0]
	v_pk_fma_f32 v[2:3], v[58:59], v[24:25], v[2:3] op_sel:[0,0,1] op_sel_hi:[0,1,0] neg_lo:[1,0,0] neg_hi:[1,0,0]
	;; [unrolled: 2-line block ×3, first 2 shown]
	v_pk_fma_f32 v[20:21], v[60:61], v[74:75], v[12:13]
	v_pk_fma_f32 v[12:13], v[60:61], v[74:75], v[12:13] op_sel_hi:[0,1,1] neg_lo:[0,0,1] neg_hi:[0,0,1]
	v_pk_fma_f32 v[42:43], v[6:7], v[34:35], v[64:65] op_sel:[0,0,1] op_sel_hi:[1,1,0]
	v_pk_fma_f32 v[6:7], v[6:7], v[34:35], v[64:65] op_sel:[0,0,1] op_sel_hi:[0,1,0] neg_lo:[1,0,0] neg_hi:[1,0,0]
	v_mov_b32_e32 v73, v15
	v_mov_b32_e32 v19, v3
	v_pk_mul_f32 v[66:67], v[66:67], v[38:39] op_sel_hi:[0,1]
	v_pk_fma_f32 v[40:41], v[10:11], v[30:31], v[26:27] op_sel:[0,0,1] op_sel_hi:[1,1,0]
	v_pk_fma_f32 v[10:11], v[10:11], v[30:31], v[26:27] op_sel:[0,0,1] op_sel_hi:[0,1,0] neg_lo:[1,0,0] neg_hi:[1,0,0]
	v_mov_b32_e32 v23, v17
	v_mov_b32_e32 v21, v13
	;; [unrolled: 1-line block ×3, first 2 shown]
	v_pk_add_f32 v[6:7], v[18:19], v[72:73] neg_lo:[0,1] neg_hi:[0,1]
	v_pk_fma_f32 v[26:27], v[46:47], v[32:33], v[62:63] op_sel:[0,0,1] op_sel_hi:[1,1,0]
	v_pk_fma_f32 v[30:31], v[48:49], v[32:33], v[62:63] op_sel:[0,0,1] op_sel_hi:[0,1,0] neg_lo:[1,0,0] neg_hi:[1,0,0]
	v_pk_fma_f32 v[34:35], v[8:9], v[38:39], v[66:67] op_sel:[0,0,1] op_sel_hi:[1,1,0]
	v_pk_fma_f32 v[8:9], v[8:9], v[38:39], v[66:67] op_sel:[0,0,1] op_sel_hi:[0,1,0] neg_lo:[1,0,0] neg_hi:[1,0,0]
	v_mov_b32_e32 v41, v11
	v_pk_add_f32 v[2:3], v[18:19], v[72:73]
	v_pk_add_f32 v[10:11], v[20:21], v[22:23] neg_lo:[0,1] neg_hi:[0,1]
	v_pk_mul_f32 v[12:13], v[6:7], s[4:5] op_sel_hi:[1,0]
	v_pk_add_f32 v[18:19], v[4:5], v[18:19]
	v_pk_fma_f32 v[32:33], v[50:51], v[28:29], v[68:69] op_sel:[0,0,1] op_sel_hi:[1,1,0]
	v_pk_fma_f32 v[28:29], v[52:53], v[28:29], v[68:69] op_sel:[0,0,1] op_sel_hi:[0,1,0] neg_lo:[1,0,0] neg_hi:[1,0,0]
	v_mov_b32_e32 v27, v31
	v_mov_b32_e32 v35, v9
	v_pk_add_f32 v[8:9], v[20:21], v[22:23]
	v_pk_mul_f32 v[14:15], v[10:11], s[18:19] op_sel_hi:[1,0]
	v_pk_fma_f32 v[52:53], v[2:3], s[2:3], v[12:13] op_sel:[0,0,1] op_sel_hi:[1,0,0]
	v_pk_fma_f32 v[12:13], v[2:3], s[2:3], v[12:13] op_sel:[0,0,1] op_sel_hi:[1,0,0] neg_lo:[0,0,1] neg_hi:[0,0,1]
	v_pk_add_f32 v[18:19], v[18:19], v[20:21]
	v_pk_fma_f32 v[38:39], v[54:55], v[36:37], v[70:71] op_sel:[0,0,1] op_sel_hi:[1,1,0]
	v_pk_fma_f32 v[36:37], v[56:57], v[36:37], v[70:71] op_sel:[0,0,1] op_sel_hi:[0,1,0] neg_lo:[1,0,0] neg_hi:[1,0,0]
	v_pk_add_f32 v[24:25], v[26:27], v[40:41] neg_lo:[0,1] neg_hi:[0,1]
	v_mov_b32_e32 v54, v52
	v_mov_b32_e32 v55, v13
	v_pk_fma_f32 v[56:57], v[8:9], s[0:1], v[14:15] op_sel:[0,0,1] op_sel_hi:[1,0,0]
	v_pk_fma_f32 v[14:15], v[8:9], s[0:1], v[14:15] op_sel:[0,0,1] op_sel_hi:[1,0,0] neg_lo:[0,0,1] neg_hi:[0,0,1]
	v_pk_add_f32 v[18:19], v[18:19], v[26:27]
	v_mov_b32_e32 v33, v29
	v_mov_b32_e32 v39, v37
	v_pk_add_f32 v[16:17], v[26:27], v[40:41]
	v_pk_mul_f32 v[28:29], v[24:25], s[10:11] op_sel_hi:[1,0]
	v_pk_add_f32 v[54:55], v[4:5], v[54:55]
	v_mov_b32_e32 v58, v56
	v_mov_b32_e32 v59, v15
	v_pk_add_f32 v[18:19], v[18:19], v[42:43]
	v_pk_add_f32 v[36:37], v[42:43], v[32:33] neg_lo:[0,1] neg_hi:[0,1]
	v_pk_add_f32 v[54:55], v[54:55], v[58:59]
	v_pk_fma_f32 v[58:59], v[16:17], s[6:7], v[28:29] op_sel:[0,0,1] op_sel_hi:[1,0,0]
	v_pk_fma_f32 v[28:29], v[16:17], s[6:7], v[28:29] op_sel:[0,0,1] op_sel_hi:[1,0,0] neg_lo:[0,0,1] neg_hi:[0,0,1]
	v_pk_add_f32 v[18:19], v[18:19], v[38:39]
	v_pk_add_f32 v[30:31], v[42:43], v[32:33]
	v_pk_mul_f32 v[44:45], v[36:37], s[12:13] op_sel_hi:[1,0]
	v_mov_b32_e32 v60, v58
	v_mov_b32_e32 v61, v29
	v_pk_add_f32 v[18:19], v[18:19], v[34:35]
	v_pk_add_f32 v[48:49], v[38:39], v[34:35] neg_lo:[0,1] neg_hi:[0,1]
	v_pk_add_f32 v[54:55], v[54:55], v[60:61]
	v_pk_fma_f32 v[60:61], v[30:31], s[8:9], v[44:45] op_sel:[0,0,1] op_sel_hi:[1,0,0]
	v_pk_fma_f32 v[44:45], v[30:31], s[8:9], v[44:45] op_sel:[0,0,1] op_sel_hi:[1,0,0] neg_lo:[0,0,1] neg_hi:[0,0,1]
	v_pk_add_f32 v[18:19], v[32:33], v[18:19]
	v_pk_add_f32 v[46:47], v[38:39], v[34:35]
	v_pk_mul_f32 v[50:51], v[48:49], s[16:17] op_sel_hi:[1,0]
	v_mov_b32_e32 v62, v60
	v_mov_b32_e32 v63, v45
	v_pk_add_f32 v[18:19], v[40:41], v[18:19]
	v_pk_add_f32 v[54:55], v[54:55], v[62:63]
	v_pk_fma_f32 v[62:63], v[46:47], s[14:15], v[50:51] op_sel:[0,0,1] op_sel_hi:[1,0,0]
	v_pk_fma_f32 v[50:51], v[46:47], s[14:15], v[50:51] op_sel:[0,0,1] op_sel_hi:[1,0,0] neg_lo:[0,0,1] neg_hi:[0,0,1]
	v_pk_add_f32 v[18:19], v[22:23], v[18:19]
	v_mov_b32_e32 v64, v62
	v_mov_b32_e32 v65, v51
	v_pk_add_f32 v[18:19], v[72:73], v[18:19]
	v_pk_add_f32 v[54:55], v[54:55], v[64:65]
	global_store_dwordx2 v[0:1], v[18:19], off
	global_store_dwordx2 v[0:1], v[54:55], off offset:1456
	v_pk_mul_f32 v[18:19], v[6:7], s[18:19] op_sel_hi:[1,0]
	v_pk_mul_f32 v[20:21], v[10:11], s[12:13] op_sel_hi:[1,0]
	v_pk_fma_f32 v[34:35], v[2:3], s[0:1], v[18:19] op_sel:[0,0,1] op_sel_hi:[1,0,0]
	v_pk_fma_f32 v[18:19], v[2:3], s[0:1], v[18:19] op_sel:[0,0,1] op_sel_hi:[1,0,0] neg_lo:[0,0,1] neg_hi:[0,0,1]
	s_mov_b32 s18, 0x3e903f40
	v_mov_b32_e32 v38, v34
	v_mov_b32_e32 v39, v19
	v_pk_fma_f32 v[40:41], v[8:9], s[8:9], v[20:21] op_sel:[0,0,1] op_sel_hi:[1,0,0]
	v_pk_fma_f32 v[20:21], v[8:9], s[8:9], v[20:21] op_sel:[0,0,1] op_sel_hi:[1,0,0] neg_lo:[0,0,1] neg_hi:[0,0,1]
	v_pk_mul_f32 v[22:23], v[24:25], s[18:19] op_sel_hi:[1,0]
	v_pk_add_f32 v[38:39], v[4:5], v[38:39]
	v_mov_b32_e32 v42, v40
	v_mov_b32_e32 v43, v21
	v_pk_add_f32 v[38:39], v[38:39], v[42:43]
	v_pk_fma_f32 v[42:43], v[16:17], s[14:15], v[22:23] op_sel:[0,0,1] op_sel_hi:[1,0,0]
	v_pk_fma_f32 v[22:23], v[16:17], s[14:15], v[22:23] op_sel:[0,0,1] op_sel_hi:[1,0,0] neg_lo:[0,0,1] neg_hi:[0,0,1]
	v_pk_mul_f32 v[26:27], v[36:37], s[20:21] op_sel_hi:[1,0]
	v_mov_b32_e32 v54, v42
	v_mov_b32_e32 v55, v23
	v_pk_add_f32 v[38:39], v[38:39], v[54:55]
	v_pk_fma_f32 v[54:55], v[30:31], s[6:7], v[26:27] op_sel:[0,0,1] op_sel_hi:[1,0,0]
	v_pk_fma_f32 v[26:27], v[30:31], s[6:7], v[26:27] op_sel:[0,0,1] op_sel_hi:[1,0,0] neg_lo:[0,0,1] neg_hi:[0,0,1]
	v_pk_mul_f32 v[32:33], v[48:49], s[22:23] op_sel_hi:[1,0]
	v_mov_b32_e32 v64, v54
	v_mov_b32_e32 v65, v27
	v_pk_add_f32 v[38:39], v[38:39], v[64:65]
	v_pk_fma_f32 v[64:65], v[46:47], s[2:3], v[32:33] op_sel:[0,0,1] op_sel_hi:[1,0,0]
	v_pk_fma_f32 v[32:33], v[46:47], s[2:3], v[32:33] op_sel:[0,0,1] op_sel_hi:[1,0,0] neg_lo:[0,0,1] neg_hi:[0,0,1]
	v_mov_b32_e32 v66, v64
	v_mov_b32_e32 v67, v33
	v_pk_add_f32 v[38:39], v[38:39], v[66:67]
	global_store_dwordx2 v[0:1], v[38:39], off offset:2912
	v_pk_mul_f32 v[38:39], v[6:7], s[10:11] op_sel_hi:[1,0]
	v_pk_mul_f32 v[66:67], v[10:11], s[18:19] op_sel_hi:[1,0]
	v_pk_fma_f32 v[74:75], v[2:3], s[6:7], v[38:39] op_sel:[0,0,1] op_sel_hi:[1,0,0]
	v_pk_fma_f32 v[38:39], v[2:3], s[6:7], v[38:39] op_sel:[0,0,1] op_sel_hi:[1,0,0] neg_lo:[0,0,1] neg_hi:[0,0,1]
	s_mov_b32 s18, 0x3f68dda4
	v_mov_b32_e32 v76, v74
	v_mov_b32_e32 v77, v39
	v_pk_fma_f32 v[78:79], v[8:9], s[14:15], v[66:67] op_sel:[0,0,1] op_sel_hi:[1,0,0]
	v_pk_fma_f32 v[66:67], v[8:9], s[14:15], v[66:67] op_sel:[0,0,1] op_sel_hi:[1,0,0] neg_lo:[0,0,1] neg_hi:[0,0,1]
	v_pk_mul_f32 v[68:69], v[24:25], s[18:19] op_sel_hi:[1,0]
	v_pk_add_f32 v[76:77], v[4:5], v[76:77]
	v_mov_b32_e32 v80, v78
	v_mov_b32_e32 v81, v67
	v_pk_add_f32 v[76:77], v[76:77], v[80:81]
	v_pk_fma_f32 v[80:81], v[16:17], s[0:1], v[68:69] op_sel:[0,0,1] op_sel_hi:[1,0,0]
	v_pk_fma_f32 v[68:69], v[16:17], s[0:1], v[68:69] op_sel:[0,0,1] op_sel_hi:[1,0,0] neg_lo:[0,0,1] neg_hi:[0,0,1]
	v_pk_mul_f32 v[70:71], v[36:37], s[4:5] op_sel_hi:[1,0]
	v_mov_b32_e32 v82, v80
	v_mov_b32_e32 v83, v69
	v_pk_add_f32 v[76:77], v[76:77], v[82:83]
	v_pk_fma_f32 v[82:83], v[30:31], s[2:3], v[70:71] op_sel:[0,0,1] op_sel_hi:[1,0,0]
	v_pk_fma_f32 v[70:71], v[30:31], s[2:3], v[70:71] op_sel:[0,0,1] op_sel_hi:[1,0,0] neg_lo:[0,0,1] neg_hi:[0,0,1]
	v_pk_mul_f32 v[72:73], v[48:49], s[12:13] op_sel_hi:[1,0]
	v_mov_b32_e32 v84, v82
	v_mov_b32_e32 v85, v71
	v_pk_add_f32 v[76:77], v[76:77], v[84:85]
	v_pk_fma_f32 v[84:85], v[46:47], s[8:9], v[72:73] op_sel:[0,0,1] op_sel_hi:[1,0,0]
	v_pk_fma_f32 v[72:73], v[46:47], s[8:9], v[72:73] op_sel:[0,0,1] op_sel_hi:[1,0,0] neg_lo:[0,0,1] neg_hi:[0,0,1]
	v_mov_b32_e32 v86, v84
	v_mov_b32_e32 v87, v73
	v_pk_add_f32 v[76:77], v[76:77], v[86:87]
	v_add_co_u32_e32 v86, vcc, s1, v0
	v_pk_mul_f32 v[88:89], v[10:11], s[20:21] op_sel_hi:[1,0]
	s_nop 0
	v_addc_co_u32_e32 v87, vcc, 0, v1, vcc
	global_store_dwordx2 v[86:87], v[76:77], off offset:272
	v_pk_mul_f32 v[76:77], v[6:7], s[12:13] op_sel_hi:[1,0]
	v_pk_fma_f32 v[100:101], v[8:9], s[6:7], v[88:89] op_sel:[0,0,1] op_sel_hi:[1,0,0]
	v_pk_fma_f32 v[96:97], v[2:3], s[8:9], v[76:77] op_sel:[0,0,1] op_sel_hi:[1,0,0]
	v_pk_fma_f32 v[76:77], v[2:3], s[8:9], v[76:77] op_sel:[0,0,1] op_sel_hi:[1,0,0] neg_lo:[0,0,1] neg_hi:[0,0,1]
	v_mov_b32_e32 v98, v96
	v_mov_b32_e32 v99, v77
	v_pk_fma_f32 v[88:89], v[8:9], s[6:7], v[88:89] op_sel:[0,0,1] op_sel_hi:[1,0,0] neg_lo:[0,0,1] neg_hi:[0,0,1]
	v_pk_mul_f32 v[90:91], v[24:25], s[4:5] op_sel_hi:[1,0]
	v_pk_add_f32 v[98:99], v[4:5], v[98:99]
	v_mov_b32_e32 v102, v100
	v_mov_b32_e32 v103, v89
	v_pk_add_f32 v[98:99], v[98:99], v[102:103]
	v_pk_fma_f32 v[102:103], v[16:17], s[2:3], v[90:91] op_sel:[0,0,1] op_sel_hi:[1,0,0]
	v_pk_fma_f32 v[90:91], v[16:17], s[2:3], v[90:91] op_sel:[0,0,1] op_sel_hi:[1,0,0] neg_lo:[0,0,1] neg_hi:[0,0,1]
	v_pk_mul_f32 v[92:93], v[36:37], s[16:17] op_sel_hi:[1,0]
	v_mov_b32_e32 v104, v102
	v_mov_b32_e32 v105, v91
	v_pk_add_f32 v[98:99], v[98:99], v[104:105]
	v_pk_fma_f32 v[104:105], v[30:31], s[14:15], v[92:93] op_sel:[0,0,1] op_sel_hi:[1,0,0]
	v_pk_fma_f32 v[92:93], v[30:31], s[14:15], v[92:93] op_sel:[0,0,1] op_sel_hi:[1,0,0] neg_lo:[0,0,1] neg_hi:[0,0,1]
	v_pk_mul_f32 v[94:95], v[48:49], s[18:19] op_sel_hi:[1,0]
	v_mov_b32_e32 v106, v104
	v_mov_b32_e32 v107, v93
	v_pk_add_f32 v[98:99], v[98:99], v[106:107]
	v_pk_fma_f32 v[106:107], v[46:47], s[0:1], v[94:95] op_sel:[0,0,1] op_sel_hi:[1,0,0]
	v_pk_fma_f32 v[94:95], v[46:47], s[0:1], v[94:95] op_sel:[0,0,1] op_sel_hi:[1,0,0] neg_lo:[0,0,1] neg_hi:[0,0,1]
	v_mov_b32_e32 v108, v106
	v_mov_b32_e32 v109, v95
	v_pk_add_f32 v[98:99], v[98:99], v[108:109]
	v_pk_mul_f32 v[6:7], v[6:7], s[16:17] op_sel_hi:[1,0]
	global_store_dwordx2 v[86:87], v[98:99], off offset:1728
	v_pk_mul_f32 v[10:11], v[10:11], s[22:23] op_sel_hi:[1,0]
	v_pk_fma_f32 v[98:99], v[2:3], s[14:15], v[6:7] op_sel:[0,0,1] op_sel_hi:[1,0,0]
	v_pk_fma_f32 v[2:3], v[2:3], s[14:15], v[6:7] op_sel:[0,0,1] op_sel_hi:[1,0,0] neg_lo:[0,0,1] neg_hi:[0,0,1]
	v_mov_b32_e32 v6, v98
	v_mov_b32_e32 v7, v3
	v_pk_fma_f32 v[108:109], v[8:9], s[2:3], v[10:11] op_sel:[0,0,1] op_sel_hi:[1,0,0]
	v_pk_fma_f32 v[8:9], v[8:9], s[2:3], v[10:11] op_sel:[0,0,1] op_sel_hi:[1,0,0] neg_lo:[0,0,1] neg_hi:[0,0,1]
	v_pk_mul_f32 v[24:25], v[24:25], s[12:13] op_sel_hi:[1,0]
	v_pk_add_f32 v[6:7], v[4:5], v[6:7]
	v_mov_b32_e32 v10, v108
	v_mov_b32_e32 v11, v9
	v_pk_add_f32 v[6:7], v[6:7], v[10:11]
	v_pk_fma_f32 v[10:11], v[16:17], s[8:9], v[24:25] op_sel:[0,0,1] op_sel_hi:[1,0,0]
	v_pk_fma_f32 v[16:17], v[16:17], s[8:9], v[24:25] op_sel:[0,0,1] op_sel_hi:[1,0,0] neg_lo:[0,0,1] neg_hi:[0,0,1]
	v_pk_mul_f32 v[36:37], v[36:37], s[18:19] op_sel_hi:[1,0]
	v_mov_b32_e32 v24, v10
	v_mov_b32_e32 v25, v17
	v_pk_add_f32 v[6:7], v[6:7], v[24:25]
	v_pk_fma_f32 v[24:25], v[30:31], s[0:1], v[36:37] op_sel:[0,0,1] op_sel_hi:[1,0,0]
	v_pk_fma_f32 v[30:31], v[30:31], s[0:1], v[36:37] op_sel:[0,0,1] op_sel_hi:[1,0,0] neg_lo:[0,0,1] neg_hi:[0,0,1]
	v_pk_mul_f32 v[48:49], v[48:49], s[10:11] op_sel_hi:[1,0]
	v_mov_b32_e32 v36, v24
	v_mov_b32_e32 v37, v31
	;; [unrolled: 1-line block ×3, first 2 shown]
	v_pk_add_f32 v[6:7], v[6:7], v[36:37]
	v_pk_fma_f32 v[36:37], v[46:47], s[6:7], v[48:49] op_sel:[0,0,1] op_sel_hi:[1,0,0]
	v_pk_fma_f32 v[46:47], v[46:47], s[6:7], v[48:49] op_sel:[0,0,1] op_sel_hi:[1,0,0] neg_lo:[0,0,1] neg_hi:[0,0,1]
	v_pk_add_f32 v[2:3], v[4:5], v[2:3]
	v_mov_b32_e32 v9, v109
	v_mov_b32_e32 v48, v36
	;; [unrolled: 1-line block ×3, first 2 shown]
	v_pk_add_f32 v[2:3], v[2:3], v[8:9]
	v_mov_b32_e32 v17, v11
	v_pk_add_f32 v[6:7], v[6:7], v[48:49]
	v_pk_add_f32 v[2:3], v[2:3], v[16:17]
	v_mov_b32_e32 v31, v25
	s_movk_i32 s0, 0x2000
	global_store_dwordx2 v[86:87], v[6:7], off offset:3184
	v_pk_add_f32 v[2:3], v[2:3], v[30:31]
	v_mov_b32_e32 v47, v37
	v_add_co_u32_e32 v6, vcc, s0, v0
	v_pk_add_f32 v[2:3], v[2:3], v[46:47]
	s_nop 0
	v_addc_co_u32_e32 v7, vcc, 0, v1, vcc
	v_mov_b32_e32 v77, v97
	global_store_dwordx2 v[6:7], v[2:3], off offset:544
	v_pk_add_f32 v[2:3], v[4:5], v[76:77]
	v_mov_b32_e32 v89, v101
	v_pk_add_f32 v[2:3], v[2:3], v[88:89]
	v_mov_b32_e32 v91, v103
	v_pk_add_f32 v[2:3], v[2:3], v[90:91]
	v_mov_b32_e32 v93, v105
	v_pk_add_f32 v[2:3], v[2:3], v[92:93]
	v_mov_b32_e32 v95, v107
	v_pk_add_f32 v[2:3], v[2:3], v[94:95]
	v_mov_b32_e32 v39, v75
	global_store_dwordx2 v[6:7], v[2:3], off offset:2000
	v_pk_add_f32 v[2:3], v[4:5], v[38:39]
	v_mov_b32_e32 v67, v79
	v_pk_add_f32 v[2:3], v[2:3], v[66:67]
	v_mov_b32_e32 v69, v81
	;; [unrolled: 2-line block ×5, first 2 shown]
	global_store_dwordx2 v[6:7], v[2:3], off offset:3456
	v_pk_add_f32 v[2:3], v[4:5], v[18:19]
	v_mov_b32_e32 v21, v41
	v_pk_add_f32 v[2:3], v[2:3], v[20:21]
	v_mov_b32_e32 v23, v43
	;; [unrolled: 2-line block ×4, first 2 shown]
	v_add_co_u32_e32 v0, vcc, 0x3000, v0
	v_pk_add_f32 v[2:3], v[2:3], v[32:33]
	s_nop 0
	v_addc_co_u32_e32 v1, vcc, 0, v1, vcc
	v_mov_b32_e32 v13, v53
	global_store_dwordx2 v[0:1], v[2:3], off offset:816
	v_pk_add_f32 v[2:3], v[4:5], v[12:13]
	v_mov_b32_e32 v15, v57
	v_pk_add_f32 v[2:3], v[2:3], v[14:15]
	v_mov_b32_e32 v29, v59
	;; [unrolled: 2-line block ×4, first 2 shown]
	v_pk_add_f32 v[2:3], v[2:3], v[50:51]
	global_store_dwordx2 v[0:1], v[2:3], off offset:2272
.LBB0_41:
	s_endpgm
	.section	.rodata,"a",@progbits
	.p2align	6, 0x0
	.amdhsa_kernel fft_rtc_back_len2002_factors_2_13_7_11_wgs_182_tpt_182_halfLds_sp_ip_CI_unitstride_sbrr_dirReg
		.amdhsa_group_segment_fixed_size 0
		.amdhsa_private_segment_fixed_size 0
		.amdhsa_kernarg_size 88
		.amdhsa_user_sgpr_count 2
		.amdhsa_user_sgpr_dispatch_ptr 0
		.amdhsa_user_sgpr_queue_ptr 0
		.amdhsa_user_sgpr_kernarg_segment_ptr 1
		.amdhsa_user_sgpr_dispatch_id 0
		.amdhsa_user_sgpr_kernarg_preload_length 0
		.amdhsa_user_sgpr_kernarg_preload_offset 0
		.amdhsa_user_sgpr_private_segment_size 0
		.amdhsa_uses_dynamic_stack 0
		.amdhsa_enable_private_segment 0
		.amdhsa_system_sgpr_workgroup_id_x 1
		.amdhsa_system_sgpr_workgroup_id_y 0
		.amdhsa_system_sgpr_workgroup_id_z 0
		.amdhsa_system_sgpr_workgroup_info 0
		.amdhsa_system_vgpr_workitem_id 0
		.amdhsa_next_free_vgpr 116
		.amdhsa_next_free_sgpr 50
		.amdhsa_accum_offset 116
		.amdhsa_reserve_vcc 1
		.amdhsa_float_round_mode_32 0
		.amdhsa_float_round_mode_16_64 0
		.amdhsa_float_denorm_mode_32 3
		.amdhsa_float_denorm_mode_16_64 3
		.amdhsa_dx10_clamp 1
		.amdhsa_ieee_mode 1
		.amdhsa_fp16_overflow 0
		.amdhsa_tg_split 0
		.amdhsa_exception_fp_ieee_invalid_op 0
		.amdhsa_exception_fp_denorm_src 0
		.amdhsa_exception_fp_ieee_div_zero 0
		.amdhsa_exception_fp_ieee_overflow 0
		.amdhsa_exception_fp_ieee_underflow 0
		.amdhsa_exception_fp_ieee_inexact 0
		.amdhsa_exception_int_div_zero 0
	.end_amdhsa_kernel
	.text
.Lfunc_end0:
	.size	fft_rtc_back_len2002_factors_2_13_7_11_wgs_182_tpt_182_halfLds_sp_ip_CI_unitstride_sbrr_dirReg, .Lfunc_end0-fft_rtc_back_len2002_factors_2_13_7_11_wgs_182_tpt_182_halfLds_sp_ip_CI_unitstride_sbrr_dirReg
                                        ; -- End function
	.section	.AMDGPU.csdata,"",@progbits
; Kernel info:
; codeLenInByte = 9556
; NumSgprs: 56
; NumVgprs: 116
; NumAgprs: 0
; TotalNumVgprs: 116
; ScratchSize: 0
; MemoryBound: 0
; FloatMode: 240
; IeeeMode: 1
; LDSByteSize: 0 bytes/workgroup (compile time only)
; SGPRBlocks: 6
; VGPRBlocks: 14
; NumSGPRsForWavesPerEU: 56
; NumVGPRsForWavesPerEU: 116
; AccumOffset: 116
; Occupancy: 4
; WaveLimiterHint : 1
; COMPUTE_PGM_RSRC2:SCRATCH_EN: 0
; COMPUTE_PGM_RSRC2:USER_SGPR: 2
; COMPUTE_PGM_RSRC2:TRAP_HANDLER: 0
; COMPUTE_PGM_RSRC2:TGID_X_EN: 1
; COMPUTE_PGM_RSRC2:TGID_Y_EN: 0
; COMPUTE_PGM_RSRC2:TGID_Z_EN: 0
; COMPUTE_PGM_RSRC2:TIDIG_COMP_CNT: 0
; COMPUTE_PGM_RSRC3_GFX90A:ACCUM_OFFSET: 28
; COMPUTE_PGM_RSRC3_GFX90A:TG_SPLIT: 0
	.text
	.p2alignl 6, 3212836864
	.fill 256, 4, 3212836864
	.type	__hip_cuid_5c0af673eae54618,@object ; @__hip_cuid_5c0af673eae54618
	.section	.bss,"aw",@nobits
	.globl	__hip_cuid_5c0af673eae54618
__hip_cuid_5c0af673eae54618:
	.byte	0                               ; 0x0
	.size	__hip_cuid_5c0af673eae54618, 1

	.ident	"AMD clang version 19.0.0git (https://github.com/RadeonOpenCompute/llvm-project roc-6.4.0 25133 c7fe45cf4b819c5991fe208aaa96edf142730f1d)"
	.section	".note.GNU-stack","",@progbits
	.addrsig
	.addrsig_sym __hip_cuid_5c0af673eae54618
	.amdgpu_metadata
---
amdhsa.kernels:
  - .agpr_count:     0
    .args:
      - .actual_access:  read_only
        .address_space:  global
        .offset:         0
        .size:           8
        .value_kind:     global_buffer
      - .offset:         8
        .size:           8
        .value_kind:     by_value
      - .actual_access:  read_only
        .address_space:  global
        .offset:         16
        .size:           8
        .value_kind:     global_buffer
      - .actual_access:  read_only
        .address_space:  global
        .offset:         24
        .size:           8
        .value_kind:     global_buffer
      - .offset:         32
        .size:           8
        .value_kind:     by_value
      - .actual_access:  read_only
        .address_space:  global
        .offset:         40
        .size:           8
        .value_kind:     global_buffer
      - .actual_access:  read_only
        .address_space:  global
        .offset:         48
        .size:           8
        .value_kind:     global_buffer
      - .offset:         56
        .size:           4
        .value_kind:     by_value
      - .actual_access:  read_only
        .address_space:  global
        .offset:         64
        .size:           8
        .value_kind:     global_buffer
      - .actual_access:  read_only
        .address_space:  global
        .offset:         72
        .size:           8
        .value_kind:     global_buffer
      - .address_space:  global
        .offset:         80
        .size:           8
        .value_kind:     global_buffer
    .group_segment_fixed_size: 0
    .kernarg_segment_align: 8
    .kernarg_segment_size: 88
    .language:       OpenCL C
    .language_version:
      - 2
      - 0
    .max_flat_workgroup_size: 182
    .name:           fft_rtc_back_len2002_factors_2_13_7_11_wgs_182_tpt_182_halfLds_sp_ip_CI_unitstride_sbrr_dirReg
    .private_segment_fixed_size: 0
    .sgpr_count:     56
    .sgpr_spill_count: 0
    .symbol:         fft_rtc_back_len2002_factors_2_13_7_11_wgs_182_tpt_182_halfLds_sp_ip_CI_unitstride_sbrr_dirReg.kd
    .uniform_work_group_size: 1
    .uses_dynamic_stack: false
    .vgpr_count:     116
    .vgpr_spill_count: 0
    .wavefront_size: 64
amdhsa.target:   amdgcn-amd-amdhsa--gfx950
amdhsa.version:
  - 1
  - 2
...

	.end_amdgpu_metadata
